;; amdgpu-corpus repo=zjin-lcf/HeCBench kind=compiled arch=gfx906 opt=O3
	.amdgcn_target "amdgcn-amd-amdhsa--gfx906"
	.amdhsa_code_object_version 6
	.text
	.protected	_Z2fkiiiiddddPiPd       ; -- Begin function _Z2fkiiiiddddPiPd
	.globl	_Z2fkiiiiddddPiPd
	.p2align	8
	.type	_Z2fkiiiiddddPiPd,@function
_Z2fkiiiiddddPiPd:                      ; @_Z2fkiiiiddddPiPd
; %bb.0:
	s_load_dword s0, s[4:5], 0x4c
	s_load_dwordx4 s[16:19], s[4:5], 0x0
	s_waitcnt lgkmcnt(0)
	s_lshr_b32 s1, s0, 16
	s_and_b32 s0, s0, 0xffff
	s_mul_i32 s6, s6, s0
	s_mul_i32 s7, s7, s1
	v_add_u32_e32 v0, s6, v0
	v_add_u32_e32 v1, s7, v1
	;; [unrolled: 1-line block ×4, first 2 shown]
	v_cmp_ge_i32_e32 vcc, s16, v2
	v_cmp_ge_i32_e64 s[0:1], s17, v3
	s_and_b64 s[0:1], vcc, s[0:1]
	s_and_saveexec_b64 s[2:3], s[0:1]
	s_cbranch_execz .LBB0_23
; %bb.1:
	s_load_dwordx8 s[20:27], s[4:5], 0x10
	v_sub_u32_e32 v3, s17, v3
	v_cvt_f64_i32_e32 v[3:4], v3
	v_cvt_f64_i32_e32 v[5:6], v1
	v_sub_u32_e32 v7, s16, v2
	s_add_i32 s0, s17, -1
	s_waitcnt lgkmcnt(0)
	v_mul_f64 v[3:4], s[20:21], v[3:4]
	v_cvt_f64_i32_e32 v[9:10], v0
	s_mov_b32 s2, 0x55555555
	s_mov_b32 s3, 0x3fe55555
	;; [unrolled: 1-line block ×6, first 2 shown]
	v_fma_f64 v[1:2], s[20:21], v[5:6], -v[3:4]
	v_cvt_f64_i32_e32 v[5:6], s0
	v_cvt_f64_i32_e32 v[3:4], v7
	s_mov_b32 s10, 0x47e6c9c2
	s_mov_b32 s11, 0x3fc110ef
	s_movk_i32 s33, 0x204
	v_mul_f64 v[3:4], s[22:23], v[3:4]
	s_mov_b32 s14, 0
	v_div_scale_f64 v[7:8], s[0:1], v[5:6], v[5:6], v[1:2]
	s_add_i32 s0, s16, -1
	v_cvt_f64_i32_e32 v[11:12], s0
	v_div_scale_f64 v[19:20], vcc, v[1:2], v[5:6], v[1:2]
	v_fma_f64 v[9:10], s[22:23], v[9:10], -v[3:4]
	s_mov_b32 s15, 0x7ff00000
	s_mov_b32 s16, 0
	;; [unrolled: 1-line block ×5, first 2 shown]
	v_mov_b32_e32 v46, 0x7ff00000
	s_brev_b32 s34, -2
	v_div_scale_f64 v[3:4], s[0:1], v[11:12], v[11:12], v[9:10]
	v_rcp_f64_e32 v[13:14], v[7:8]
	v_rcp_f64_e32 v[15:16], v[3:4]
	v_fma_f64 v[17:18], -v[7:8], v[13:14], 1.0
	v_fma_f64 v[13:14], v[13:14], v[17:18], v[13:14]
	v_fma_f64 v[17:18], -v[3:4], v[15:16], 1.0
	v_fma_f64 v[21:22], -v[7:8], v[13:14], 1.0
	v_fma_f64 v[15:16], v[15:16], v[17:18], v[15:16]
	v_div_scale_f64 v[17:18], s[0:1], v[9:10], v[11:12], v[9:10]
	v_fma_f64 v[13:14], v[13:14], v[21:22], v[13:14]
	v_fma_f64 v[21:22], -v[3:4], v[15:16], 1.0
	v_mul_f64 v[23:24], v[19:20], v[13:14]
	v_fma_f64 v[15:16], v[15:16], v[21:22], v[15:16]
	v_fma_f64 v[7:8], -v[7:8], v[23:24], v[19:20]
	v_mul_f64 v[19:20], v[17:18], v[15:16]
	v_div_fmas_f64 v[7:8], v[7:8], v[13:14], v[23:24]
	s_mov_b64 vcc, s[0:1]
	v_fma_f64 v[3:4], -v[3:4], v[19:20], v[17:18]
	v_div_fmas_f64 v[13:14], v[3:4], v[15:16], v[19:20]
	v_div_fixup_f64 v[0:1], v[7:8], v[5:6], v[1:2]
	v_div_scale_f64 v[4:5], s[0:1], s[20:21], s[20:21], v[0:1]
	v_div_fixup_f64 v[2:3], v[13:14], v[11:12], v[9:10]
	v_div_scale_f64 v[14:15], vcc, v[0:1], s[20:21], v[0:1]
	v_div_scale_f64 v[6:7], s[0:1], s[22:23], s[22:23], v[2:3]
	v_rcp_f64_e32 v[8:9], v[4:5]
	v_rcp_f64_e32 v[10:11], v[6:7]
	v_fma_f64 v[12:13], -v[4:5], v[8:9], 1.0
	v_fma_f64 v[8:9], v[8:9], v[12:13], v[8:9]
	v_fma_f64 v[12:13], -v[6:7], v[10:11], 1.0
	v_fma_f64 v[16:17], -v[4:5], v[8:9], 1.0
	v_fma_f64 v[10:11], v[10:11], v[12:13], v[10:11]
	v_div_scale_f64 v[12:13], s[0:1], v[2:3], s[22:23], v[2:3]
	v_fma_f64 v[8:9], v[8:9], v[16:17], v[8:9]
	v_fma_f64 v[16:17], -v[6:7], v[10:11], 1.0
	v_mul_f64 v[18:19], v[14:15], v[8:9]
	v_fma_f64 v[10:11], v[10:11], v[16:17], v[10:11]
	v_fma_f64 v[4:5], -v[4:5], v[18:19], v[14:15]
	v_mul_f64 v[14:15], v[12:13], v[10:11]
	v_div_fmas_f64 v[4:5], v[4:5], v[8:9], v[18:19]
	s_mov_b64 vcc, s[0:1]
	v_fma_f64 v[6:7], -v[6:7], v[14:15], v[12:13]
	v_div_fmas_f64 v[6:7], v[6:7], v[10:11], v[14:15]
	v_div_fixup_f64 v[4:5], v[4:5], s[20:21], v[0:1]
	v_frexp_mant_f64_e64 v[8:9], |v[4:5]|
	v_cmp_class_f64_e64 s[28:29], v[4:5], s33
	v_div_fixup_f64 v[6:7], v[6:7], s[22:23], v[2:3]
	v_cmp_gt_f64_e64 s[0:1], s[2:3], v[8:9]
	v_cmp_class_f64_e64 s[36:37], v[6:7], s33
	v_cndmask_b32_e64 v10, 0, 1, s[0:1]
	v_ldexp_f64 v[8:9], v[8:9], v10
	v_frexp_mant_f64_e64 v[10:11], |v[6:7]|
	v_add_f64 v[12:13], v[8:9], 1.0
	v_cmp_gt_f64_e32 vcc, s[2:3], v[10:11]
	v_cndmask_b32_e64 v14, 0, 1, vcc
	v_ldexp_f64 v[10:11], v[10:11], v14
	v_rcp_f64_e32 v[14:15], v[12:13]
	v_add_f64 v[16:17], v[10:11], 1.0
	v_add_f64 v[26:27], v[10:11], -1.0
	v_rcp_f64_e32 v[18:19], v[16:17]
	v_fma_f64 v[20:21], -v[12:13], v[14:15], 1.0
	v_fma_f64 v[14:15], v[20:21], v[14:15], v[14:15]
	v_fma_f64 v[20:21], -v[16:17], v[18:19], 1.0
	v_fma_f64 v[22:23], -v[12:13], v[14:15], 1.0
	v_fma_f64 v[18:19], v[20:21], v[18:19], v[18:19]
	v_add_f64 v[20:21], v[8:9], -1.0
	v_fma_f64 v[14:15], v[22:23], v[14:15], v[14:15]
	v_fma_f64 v[22:23], -v[16:17], v[18:19], 1.0
	v_mul_f64 v[24:25], v[20:21], v[14:15]
	v_fma_f64 v[18:19], v[22:23], v[18:19], v[18:19]
	v_add_f64 v[22:23], v[12:13], -1.0
	v_mul_f64 v[28:29], v[12:13], v[24:25]
	v_mul_f64 v[30:31], v[26:27], v[18:19]
	v_add_f64 v[8:9], v[8:9], -v[22:23]
	v_fma_f64 v[12:13], v[24:25], v[12:13], -v[28:29]
	v_add_f64 v[22:23], v[16:17], -1.0
	v_mul_f64 v[32:33], v[16:17], v[30:31]
	v_fma_f64 v[8:9], v[24:25], v[8:9], v[12:13]
	v_add_f64 v[10:11], v[10:11], -v[22:23]
	v_fma_f64 v[12:13], v[30:31], v[16:17], -v[32:33]
	v_add_f64 v[16:17], v[28:29], v[8:9]
	v_fma_f64 v[10:11], v[30:31], v[10:11], v[12:13]
	v_add_f64 v[12:13], v[20:21], -v[16:17]
	v_add_f64 v[28:29], v[16:17], -v[28:29]
	v_add_f64 v[22:23], v[32:33], v[10:11]
	v_add_f64 v[20:21], v[20:21], -v[12:13]
	v_add_f64 v[8:9], v[28:29], -v[8:9]
	;; [unrolled: 1-line block ×6, first 2 shown]
	v_add_f64 v[8:9], v[8:9], v[16:17]
	v_add_f64 v[10:11], v[20:21], -v[10:11]
	v_add_f64 v[16:17], v[26:27], -v[22:23]
	v_add_f64 v[8:9], v[12:13], v[8:9]
	v_add_f64 v[10:11], v[10:11], v[16:17]
	v_mul_f64 v[8:9], v[14:15], v[8:9]
	v_add_f64 v[10:11], v[34:35], v[10:11]
	v_add_f64 v[14:15], v[24:25], v[8:9]
	v_mul_f64 v[16:17], v[18:19], v[10:11]
	v_add_f64 v[10:11], v[14:15], -v[24:25]
	v_mul_f64 v[18:19], v[14:15], v[14:15]
	v_add_f64 v[12:13], v[30:31], v[16:17]
	v_add_f64 v[10:11], v[8:9], -v[10:11]
	v_fma_f64 v[20:21], v[14:15], v[14:15], -v[18:19]
	v_add_f64 v[8:9], v[12:13], -v[30:31]
	v_mul_f64 v[24:25], v[12:13], v[12:13]
	v_add_f64 v[22:23], v[10:11], v[10:11]
	v_add_f64 v[8:9], v[16:17], -v[8:9]
	v_fma_f64 v[16:17], v[14:15], v[22:23], v[20:21]
	v_fma_f64 v[20:21], v[12:13], v[12:13], -v[24:25]
	v_add_f64 v[22:23], v[8:9], v[8:9]
	v_add_f64 v[26:27], v[18:19], v[16:17]
	v_fma_f64 v[20:21], v[12:13], v[22:23], v[20:21]
	v_mov_b32_e32 v23, s7
	v_mov_b32_e32 v22, s6
	v_fma_f64 v[28:29], v[26:27], s[8:9], v[22:23]
	s_mov_b32 s6, 0x3abe935a
	s_mov_b32 s7, 0x3fbe25e4
	v_add_f64 v[18:19], v[26:27], -v[18:19]
	v_mul_f64 v[36:37], v[14:15], v[26:27]
	v_add_f64 v[30:31], v[24:25], v[20:21]
	v_fma_f64 v[28:29], v[26:27], v[28:29], s[6:7]
	v_add_f64 v[16:17], v[16:17], -v[18:19]
	v_fma_f64 v[22:23], v[30:31], s[8:9], v[22:23]
	s_mov_b32 s8, 0xcfa74449
	s_mov_b32 s9, 0x3fc3b13b
	v_fma_f64 v[28:29], v[26:27], v[28:29], s[10:11]
	v_add_f64 v[24:25], v[30:31], -v[24:25]
	v_mul_f64 v[42:43], v[12:13], v[30:31]
	v_fma_f64 v[22:23], v[30:31], v[22:23], s[6:7]
	s_mov_b32 s6, 0x71bf3c30
	s_mov_b32 s7, 0x3fc745d1
	v_fma_f64 v[28:29], v[26:27], v[28:29], s[8:9]
	v_add_f64 v[20:21], v[20:21], -v[24:25]
	v_fma_f64 v[22:23], v[30:31], v[22:23], s[10:11]
	s_mov_b32 s10, 0x1c7792ce
	s_mov_b32 s11, 0x3fcc71c7
	v_fma_f64 v[28:29], v[26:27], v[28:29], s[6:7]
	v_fma_f64 v[22:23], v[30:31], v[22:23], s[8:9]
	s_mov_b32 s8, 0x924920da
	s_mov_b32 s9, 0x3fd24924
	v_fma_f64 v[28:29], v[26:27], v[28:29], s[10:11]
	;; [unrolled: 4-line block ×4, first 2 shown]
	v_fma_f64 v[22:23], v[30:31], v[22:23], s[8:9]
	s_mov_b32 s8, 0xd5df274d
	s_mov_b32 s9, 0x3c8543b0
	v_mul_f64 v[32:33], v[26:27], v[28:29]
	v_fma_f64 v[22:23], v[30:31], v[22:23], s[6:7]
	s_mov_b32 s7, 0xbfe55555
	s_mov_b32 s6, s2
	v_fma_f64 v[18:19], v[26:27], v[28:29], -v[32:33]
	v_mul_f64 v[34:35], v[30:31], v[22:23]
	v_fma_f64 v[18:19], v[16:17], v[28:29], v[18:19]
	v_fma_f64 v[24:25], v[30:31], v[22:23], -v[34:35]
	v_add_f64 v[28:29], v[32:33], v[18:19]
	v_fma_f64 v[22:23], v[20:21], v[22:23], v[24:25]
	v_add_f64 v[24:25], v[28:29], s[2:3]
	v_add_f64 v[32:33], v[28:29], -v[32:33]
	v_add_f64 v[38:39], v[34:35], v[22:23]
	v_add_f64 v[40:41], v[24:25], s[6:7]
	v_add_f64 v[18:19], v[18:19], -v[32:33]
	v_fma_f64 v[32:33], v[26:27], v[14:15], -v[36:37]
	v_add_f64 v[44:45], v[38:39], s[2:3]
	v_add_f64 v[34:35], v[38:39], -v[34:35]
	v_add_f64 v[28:29], v[28:29], -v[40:41]
	v_add_f64 v[18:19], v[18:19], s[8:9]
	v_fma_f64 v[26:27], v[26:27], v[10:11], v[32:33]
	v_fma_f64 v[32:33], v[30:31], v[12:13], -v[42:43]
	v_ldexp_f64 v[10:11], v[10:11], 1
	v_add_f64 v[40:41], v[44:45], s[6:7]
	v_add_f64 v[22:23], v[22:23], -v[34:35]
	s_mov_b32 s6, 0xfefa39ef
	s_mov_b32 s7, 0x3fe62e42
	v_add_f64 v[18:19], v[18:19], v[28:29]
	v_fma_f64 v[16:17], v[16:17], v[14:15], v[26:27]
	v_fma_f64 v[26:27], v[30:31], v[8:9], v[32:33]
	v_ldexp_f64 v[14:15], v[14:15], 1
	v_add_f64 v[28:29], v[38:39], -v[40:41]
	v_add_f64 v[22:23], v[22:23], s[8:9]
	s_mov_b32 s8, 0x3b39803f
	s_mov_b32 s9, 0x3c7abc9e
	v_add_f64 v[30:31], v[24:25], v[18:19]
	v_add_f64 v[32:33], v[36:37], v[16:17]
	v_fma_f64 v[20:21], v[20:21], v[12:13], v[26:27]
	v_ldexp_f64 v[12:13], v[12:13], 1
	v_ldexp_f64 v[8:9], v[8:9], 1
	v_add_f64 v[22:23], v[22:23], v[28:29]
	v_add_f64 v[24:25], v[24:25], -v[30:31]
	v_mul_f64 v[26:27], v[32:33], v[30:31]
	v_add_f64 v[28:29], v[42:43], v[20:21]
	v_add_f64 v[36:37], v[32:33], -v[36:37]
	v_add_f64 v[34:35], v[44:45], v[22:23]
	v_add_f64 v[18:19], v[18:19], v[24:25]
	v_fma_f64 v[24:25], v[32:33], v[30:31], -v[26:27]
	v_add_f64 v[16:17], v[16:17], -v[36:37]
	v_add_f64 v[38:39], v[44:45], -v[34:35]
	v_mul_f64 v[40:41], v[28:29], v[34:35]
	v_mov_b32_e32 v45, 0x3ff00000
	v_mov_b32_e32 v44, 0x7ff80000
	v_fma_f64 v[18:19], v[32:33], v[18:19], v[24:25]
	v_add_f64 v[24:25], v[28:29], -v[42:43]
	v_add_f64 v[22:23], v[22:23], v[38:39]
	v_fma_f64 v[32:33], v[28:29], v[34:35], -v[40:41]
	v_fma_f64 v[16:17], v[16:17], v[30:31], v[18:19]
	v_frexp_exp_i32_f64_e32 v30, v[4:5]
	v_add_f64 v[18:19], v[20:21], -v[24:25]
	v_fma_f64 v[20:21], v[28:29], v[22:23], v[32:33]
	v_frexp_exp_i32_f64_e32 v32, v[6:7]
	v_add_f64 v[22:23], v[26:27], v[16:17]
	v_subbrev_co_u32_e64 v24, s[0:1], 0, v30, s[0:1]
	v_cmp_eq_f64_e64 s[0:1], 1.0, v[6:7]
	v_fma_f64 v[18:19], v[18:19], v[34:35], v[20:21]
	v_cvt_f64_i32_e32 v[20:21], v24
	v_add_f64 v[24:25], v[14:15], v[22:23]
	v_add_f64 v[26:27], v[22:23], -v[26:27]
	v_mul_f64 v[28:29], v[20:21], s[6:7]
	v_add_f64 v[30:31], v[40:41], v[18:19]
	v_add_f64 v[14:15], v[24:25], -v[14:15]
	v_add_f64 v[16:17], v[16:17], -v[26:27]
	v_subbrev_co_u32_e32 v26, vcc, 0, v32, vcc
	v_fma_f64 v[32:33], v[20:21], s[6:7], -v[28:29]
	v_add_f64 v[34:35], v[12:13], v[30:31]
	v_add_f64 v[36:37], v[30:31], -v[40:41]
	v_cvt_f64_i32_e32 v[26:27], v26
	v_add_f64 v[14:15], v[22:23], -v[14:15]
	v_add_f64 v[10:11], v[10:11], v[16:17]
	v_cmp_eq_f64_e32 vcc, 1.0, v[4:5]
	v_mul_f64 v[16:17], v[26:27], s[6:7]
	v_fma_f64 v[20:21], v[20:21], s[8:9], v[32:33]
	v_add_f64 v[12:13], v[34:35], -v[12:13]
	v_add_f64 v[18:19], v[18:19], -v[36:37]
	v_add_f64 v[10:11], v[10:11], v[14:15]
	v_fma_f64 v[14:15], v[26:27], s[6:7], -v[16:17]
	s_mov_b32 s7, 0xbfe62e42
	v_add_f64 v[12:13], v[30:31], -v[12:13]
	v_add_f64 v[8:9], v[8:9], v[18:19]
	v_add_f64 v[18:19], v[28:29], v[20:21]
	;; [unrolled: 1-line block ×3, first 2 shown]
	v_fma_f64 v[14:15], v[26:27], s[8:9], v[14:15]
	s_mov_b32 s9, 0xbc7abc9e
	v_add_f64 v[8:9], v[8:9], v[12:13]
	v_add_f64 v[28:29], v[18:19], -v[28:29]
	v_add_f64 v[12:13], v[18:19], v[22:23]
	v_add_f64 v[24:25], v[22:23], -v[24:25]
	v_add_f64 v[26:27], v[16:17], v[14:15]
	v_add_f64 v[30:31], v[34:35], v[8:9]
	v_add_f64 v[20:21], v[20:21], -v[28:29]
	v_add_f64 v[32:33], v[12:13], -v[18:19]
	;; [unrolled: 1-line block ×4, first 2 shown]
	v_add_f64 v[36:37], v[26:27], v[30:31]
	v_add_f64 v[28:29], v[30:31], -v[34:35]
	v_add_f64 v[38:39], v[12:13], -v[32:33]
	;; [unrolled: 1-line block ×3, first 2 shown]
	v_add_f64 v[32:33], v[20:21], v[10:11]
	v_add_f64 v[14:15], v[14:15], -v[16:17]
	v_add_f64 v[24:25], v[36:37], -v[26:27]
	;; [unrolled: 1-line block ×6, first 2 shown]
	v_add_f64 v[18:19], v[22:23], v[18:19]
	v_add_f64 v[22:23], v[32:33], -v[20:21]
	v_add_f64 v[24:25], v[26:27], -v[34:35]
	v_add_f64 v[26:27], v[14:15], v[8:9]
	v_add_f64 v[18:19], v[32:33], v[18:19]
	v_add_f64 v[28:29], v[32:33], -v[22:23]
	v_add_f64 v[10:11], v[10:11], -v[22:23]
	v_add_f64 v[16:17], v[16:17], v[24:25]
	v_add_f64 v[30:31], v[26:27], -v[14:15]
	v_add_f64 v[24:25], v[12:13], v[18:19]
	;; [unrolled: 2-line block ×3, first 2 shown]
	v_add_f64 v[22:23], v[26:27], -v[30:31]
	v_add_f64 v[8:9], v[8:9], -v[30:31]
	;; [unrolled: 1-line block ×3, first 2 shown]
	v_add_f64 v[10:11], v[10:11], v[20:21]
	v_add_f64 v[20:21], v[36:37], v[16:17]
	v_add_f64 v[14:15], v[14:15], -v[22:23]
	v_add_f64 v[12:13], v[18:19], -v[12:13]
	;; [unrolled: 1-line block ×3, first 2 shown]
	v_add_f64 v[8:9], v[8:9], v[14:15]
	v_add_f64 v[10:11], v[10:11], v[12:13]
	v_mov_b32_e32 v12, 0
	v_cndmask_b32_e32 v13, 2.0, v45, vcc
	v_trunc_f64_e32 v[22:23], v[12:13]
	v_mul_f64 v[26:27], v[12:13], 0.5
	v_add_f64 v[14:15], v[16:17], -v[18:19]
	v_add_f64 v[18:19], v[24:25], v[10:11]
	v_cmp_eq_f64_e32 vcc, v[22:23], v[12:13]
	v_trunc_f64_e32 v[40:41], v[26:27]
	v_add_f64 v[8:9], v[8:9], v[14:15]
	v_add_f64 v[14:15], v[18:19], -v[24:25]
	v_mul_f64 v[16:17], v[12:13], v[18:19]
	v_add_f64 v[24:25], v[20:21], v[8:9]
	v_add_f64 v[10:11], v[10:11], -v[14:15]
	v_fma_f64 v[14:15], v[12:13], v[18:19], -v[16:17]
	v_add_f64 v[22:23], v[24:25], -v[20:21]
	v_fma_f64 v[18:19], v[12:13], v[10:11], v[14:15]
	v_cndmask_b32_e64 v13, 2.0, v45, s[0:1]
	v_mul_f64 v[20:21], v[12:13], v[24:25]
	v_cmp_class_f64_e64 s[0:1], v[16:17], s33
	v_add_f64 v[8:9], v[8:9], -v[22:23]
	v_mul_f64 v[42:43], v[12:13], 0.5
	v_add_f64 v[28:29], v[16:17], v[18:19]
	v_fma_f64 v[10:11], v[12:13], v[24:25], -v[20:21]
	v_cmp_class_f64_e64 s[2:3], v[20:21], s33
	v_cndmask_b32_e64 v15, v29, v17, s[0:1]
	v_cndmask_b32_e64 v14, v28, v16, s[0:1]
	v_fma_f64 v[8:9], v[12:13], v[8:9], v[10:11]
	v_mul_f64 v[22:23], v[14:15], s[10:11]
	s_mov_b32 s0, 0xfca7ab0c
	s_mov_b32 s1, 0x3e928af3
	v_add_f64 v[16:17], v[28:29], -v[16:17]
	v_cmp_ngt_f64_e64 s[12:13], s[30:31], v[14:15]
	v_add_f64 v[24:25], v[20:21], v[8:9]
	v_rndne_f64_e32 v[30:31], v[22:23]
	v_add_f64 v[16:17], v[18:19], -v[16:17]
	v_cndmask_b32_e64 v11, v25, v21, s[2:3]
	v_cndmask_b32_e64 v10, v24, v20, s[2:3]
	v_mul_f64 v[32:33], v[10:11], s[10:11]
	s_mov_b32 s2, 0x6a5dcb37
	s_mov_b32 s3, 0x3e5ade15
	v_cmp_neq_f64_e64 s[10:11], |v[14:15]|, s[14:15]
	v_add_f64 v[18:19], v[24:25], -v[20:21]
	v_rndne_f64_e32 v[22:23], v[32:33]
	v_fma_f64 v[32:33], v[30:31], s[6:7], v[14:15]
	v_cndmask_b32_e64 v17, 0, v17, s[10:11]
	v_add_f64 v[8:9], v[8:9], -v[18:19]
	v_cndmask_b32_e64 v16, 0, v16, s[10:11]
	v_cmp_neq_f64_e64 s[10:11], |v[10:11]|, s[14:15]
	v_cmp_nlt_f64_e64 s[14:15], s[16:17], v[10:11]
	v_fma_f64 v[36:37], v[22:23], s[6:7], v[10:11]
	v_fma_f64 v[34:35], v[30:31], s[8:9], v[32:33]
	s_mov_b32 s6, 0x55555511
	s_mov_b32 s7, 0x3fc55555
	v_cndmask_b32_e64 v9, 0, v9, s[10:11]
	v_cndmask_b32_e64 v8, 0, v8, s[10:11]
	v_fma_f64 v[32:33], v[22:23], s[8:9], v[36:37]
	v_mov_b32_e32 v37, s1
	v_mov_b32_e32 v36, s0
	v_fma_f64 v[38:39], v[34:35], s[2:3], v[36:37]
	s_mov_b32 s0, 0x623fde64
	s_mov_b32 s1, 0x3ec71dee
	;; [unrolled: 1-line block ×4, first 2 shown]
	v_fma_f64 v[36:37], v[32:33], s[2:3], v[36:37]
	s_mov_b32 s2, 0x555502a1
	s_mov_b32 s3, 0x3fa55555
	v_fma_f64 v[38:39], v[34:35], v[38:39], s[0:1]
	v_cvt_i32_f64_e32 v22, v[22:23]
	v_fma_f64 v[36:37], v[32:33], v[36:37], s[0:1]
	s_mov_b32 s0, 0x7c89e6b0
	s_mov_b32 s1, 0x3efa0199
	v_fma_f64 v[38:39], v[34:35], v[38:39], s[0:1]
	v_fma_f64 v[36:37], v[32:33], v[36:37], s[0:1]
	s_mov_b32 s0, 0x14761f6e
	s_mov_b32 s1, 0x3f2a01a0
	v_fma_f64 v[38:39], v[34:35], v[38:39], s[0:1]
	;; [unrolled: 4-line block ×4, first 2 shown]
	v_fma_f64 v[36:37], v[32:33], v[36:37], s[0:1]
	v_cmp_eq_f64_e64 s[0:1], 0, v[4:5]
	v_fma_f64 v[38:39], v[34:35], v[38:39], s[2:3]
	v_fma_f64 v[36:37], v[32:33], v[36:37], s[2:3]
	v_cmp_neq_f64_e64 s[2:3], v[40:41], v[26:27]
	v_trunc_f64_e32 v[26:27], v[12:13]
	v_fma_f64 v[38:39], v[34:35], v[38:39], s[6:7]
	v_trunc_f64_e32 v[40:41], v[42:43]
	v_cndmask_b32_e64 v47, v46, 0, s[0:1]
	v_fma_f64 v[36:37], v[32:33], v[36:37], s[6:7]
	s_and_b64 s[2:3], vcc, s[2:3]
	v_cmp_eq_f64_e64 s[6:7], 0, v[6:7]
	v_fma_f64 v[38:39], v[34:35], v[38:39], s[8:9]
	v_fma_f64 v[36:37], v[32:33], v[36:37], s[8:9]
	v_cmp_neq_f64_e64 s[8:9], v[40:41], v[42:43]
	v_cndmask_b32_e64 v48, v46, 0, s[6:7]
	v_fma_f64 v[28:29], v[34:35], v[38:39], 1.0
	v_cndmask_b32_e64 v38, v45, v5, s[2:3]
	v_cndmask_b32_e64 v39, 0, v5, s[2:3]
	v_cmp_eq_f64_e64 s[2:3], v[26:27], v[12:13]
	v_fma_f64 v[12:13], v[32:33], v[36:37], 1.0
	v_bfi_b32 v36, s34, v47, v39
	v_fma_f64 v[26:27], v[34:35], v[28:29], 1.0
	v_cvt_i32_f64_e32 v28, v[30:31]
	s_and_b64 s[8:9], s[2:3], s[8:9]
	v_cndmask_b32_e64 v24, v45, v7, s[8:9]
	v_fma_f64 v[12:13], v[32:33], v[12:13], 1.0
	v_cndmask_b32_e64 v25, 0, v7, s[8:9]
	v_cmp_nlt_f64_e64 s[8:9], s[16:17], v[14:15]
	v_ldexp_f64 v[20:21], v[26:27], v28
	v_cmp_ngt_f64_e64 s[16:17], s[30:31], v[10:11]
	v_bfi_b32 v23, s34, v48, v25
	v_ldexp_f64 v[12:13], v[12:13], v22
	v_cndmask_b32_e64 v18, v46, v21, s[8:9]
	s_and_b64 s[8:9], s[12:13], s[8:9]
	v_cndmask_b32_e64 v11, 0, v18, s[12:13]
	v_cndmask_b32_e64 v10, 0, v20, s[8:9]
	s_and_b64 s[10:11], s[16:17], s[14:15]
	v_cndmask_b32_e64 v15, v46, v13, s[14:15]
	v_fma_f64 v[13:14], v[10:11], v[16:17], v[10:11]
	v_cmp_class_f64_e64 s[8:9], v[10:11], s33
	v_cndmask_b32_e64 v16, 0, v15, s[16:17]
	v_cndmask_b32_e64 v15, 0, v12, s[10:11]
	v_fma_f64 v[8:9], v[15:16], v[8:9], v[15:16]
	v_cmp_class_f64_e64 s[10:11], v[15:16], s33
	v_cndmask_b32_e64 v11, v14, v11, s[8:9]
	v_cndmask_b32_e64 v10, v13, v10, s[8:9]
	v_bfi_b32 v11, s34, v11, v38
	v_cndmask_b32_e32 v12, v44, v11, vcc
	v_cndmask_b32_e64 v9, v9, v16, s[10:11]
	v_cndmask_b32_e32 v13, 0, v10, vcc
	v_cmp_gt_f64_e32 vcc, 0, v[4:5]
	v_cndmask_b32_e64 v8, v8, v15, s[10:11]
	v_bfi_b32 v9, s34, v9, v24
	v_cndmask_b32_e64 v14, v44, v9, s[2:3]
	v_cndmask_b32_e64 v15, 0, v8, s[2:3]
	v_cmp_gt_f64_e64 s[2:3], 0, v[6:7]
	v_cndmask_b32_e32 v10, v10, v13, vcc
	v_cndmask_b32_e32 v11, v11, v12, vcc
	s_or_b64 vcc, s[0:1], s[28:29]
	v_cndmask_b32_e32 v11, v11, v36, vcc
	v_cndmask_b32_e64 v10, v10, 0, vcc
	v_cmp_o_f64_e32 vcc, v[4:5], v[4:5]
	v_cndmask_b32_e64 v4, v8, v15, s[2:3]
	v_cndmask_b32_e64 v5, v9, v14, s[2:3]
	s_or_b64 s[0:1], s[6:7], s[36:37]
	v_cndmask_b32_e64 v8, v5, v23, s[0:1]
	v_cndmask_b32_e64 v9, v4, 0, s[0:1]
	v_cmp_o_f64_e64 s[0:1], v[6:7], v[6:7]
	v_cndmask_b32_e32 v4, 0, v10, vcc
	v_cndmask_b32_e32 v5, v44, v11, vcc
	v_cndmask_b32_e64 v6, 0, v9, s[0:1]
	v_cndmask_b32_e64 v7, v44, v8, s[0:1]
	v_add_f64 v[6:7], v[6:7], v[4:5]
	v_cmp_nlt_f64_e32 vcc, 1.0, v[6:7]
	s_and_b64 exec, exec, vcc
	s_cbranch_execz .LBB0_23
; %bb.2:
	s_mov_b64 s[2:3], exec
	v_mbcnt_lo_u32_b32 v4, s2, 0
	v_mbcnt_hi_u32_b32 v4, s3, v4
	v_cmp_eq_u32_e32 vcc, 0, v4
	s_and_saveexec_b64 s[0:1], vcc
	s_cbranch_execz .LBB0_4
; %bb.3:
	s_load_dwordx2 s[6:7], s[4:5], 0x30
	s_bcnt1_i32_b64 s2, s[2:3]
	v_mov_b32_e32 v4, 0
	v_mov_b32_e32 v5, s2
	s_waitcnt lgkmcnt(0)
	global_atomic_add v4, v5, s[6:7]
.LBB0_4:
	s_or_b64 exec, exec, s[0:1]
	s_load_dwordx2 s[8:9], s[4:5], 0x38
	s_cmp_lt_i32 s19, 1
	s_cbranch_scc1 .LBB0_17
; %bb.5:
	v_div_scale_f64 v[4:5], s[0:1], s[20:21], s[20:21], 1.0
	s_mov_b32 s6, 0x1c5f68
	s_mov_b32 s10, 0x55555555
	;; [unrolled: 1-line block ×14, first 2 shown]
	v_rcp_f64_e32 v[8:9], v[4:5]
	s_mov_b32 s48, 0xd5df274d
	s_mov_b32 s50, 0
	;; [unrolled: 1-line block ×15, first 2 shown]
	v_fma_f64 v[10:11], -v[4:5], v[8:9], 1.0
	s_xor_b32 s5, s27, 0x80000000
	s_mov_b32 s4, s26
	s_mov_b32 s33, 0
	v_mov_b32_e32 v40, s18
	s_mov_b32 s18, 0x834e0b5f
	s_mov_b32 s84, 0xfffe0ce3
	s_movk_i32 s85, 0x41a7
	v_fma_f64 v[8:9], v[8:9], v[10:11], v[8:9]
	v_div_scale_f64 v[10:11], vcc, 1.0, s[20:21], 1.0
	s_movk_i32 s86, 0xf4ec
	s_brev_b32 s87, -2
	s_mov_b32 s7, 0x3e000000
	s_mov_b32 s11, 0x3fe55555
	;; [unrolled: 1-line block ×3, first 2 shown]
	v_fma_f64 v[12:13], -v[4:5], v[8:9], 1.0
	s_mov_b32 s15, 0x3fba6564
	s_mov_b32 s17, 0x3fbdee67
	;; [unrolled: 1-line block ×7, first 2 shown]
	v_fma_f64 v[8:9], v[8:9], v[12:13], v[8:9]
	s_mov_b32 s41, 0x3fd24924
	s_mov_b32 s43, 0x3fd99999
	s_mov_b32 s45, 0x3fe62e42
	s_mov_b32 s47, 0x3c7abc9e
	s_mov_b32 s49, 0x3c8543b0
	s_movk_i32 s88, 0x204
	s_mov_b32 s51, 0x7ff00000
	v_mul_f64 v[12:13], v[10:11], v[8:9]
	s_mov_b32 s53, 0x3ff71547
	s_mov_b32 s55, 0xbfe62e42
	;; [unrolled: 1-line block ×7, first 2 shown]
	v_fma_f64 v[4:5], -v[4:5], v[12:13], v[10:11]
	v_mov_b32_e32 v10, 0
	s_mov_b32 s67, 0x3f2a01a0
	s_mov_b32 s69, 0x3f56c16c
	s_mov_b32 s71, 0x3f811111
	s_mov_b32 s73, 0x3fa55555
	s_mov_b32 s75, 0x3fc55555
	s_mov_b32 s77, 0x3fe00000
	v_div_fmas_f64 v[4:5], v[4:5], v[8:9], v[12:13]
	v_div_scale_f64 v[8:9], s[0:1], s[22:23], s[22:23], 1.0
	s_mov_b32 s79, 0x40900000
	s_mov_b32 s81, 0xc090cc00
	v_mov_b32_e32 v41, 0x3ff00000
	v_mov_b32_e32 v42, 0x7ff00000
	;; [unrolled: 1-line block ×3, first 2 shown]
	v_div_fixup_f64 v[11:12], v[4:5], s[20:21], 1.0
	v_rcp_f64_e32 v[15:16], v[8:9]
	v_div_scale_f64 v[4:5], s[0:1], s[20:21], s[20:21], v[11:12]
	v_div_scale_f64 v[21:22], s[0:1], 1.0, s[22:23], 1.0
	v_fma_f64 v[19:20], -v[8:9], v[15:16], 1.0
	v_rcp_f64_e32 v[13:14], v[4:5]
	v_fma_f64 v[15:16], v[15:16], v[19:20], v[15:16]
	v_fma_f64 v[23:24], -v[8:9], v[15:16], 1.0
	v_fma_f64 v[17:18], -v[4:5], v[13:14], 1.0
	v_fma_f64 v[15:16], v[15:16], v[23:24], v[15:16]
	v_fma_f64 v[13:14], v[13:14], v[17:18], v[13:14]
	v_div_scale_f64 v[17:18], vcc, v[11:12], s[20:21], v[11:12]
	v_mul_f64 v[23:24], v[21:22], v[15:16]
	v_fma_f64 v[19:20], -v[4:5], v[13:14], 1.0
	v_fma_f64 v[8:9], -v[8:9], v[23:24], v[21:22]
	v_fma_f64 v[13:14], v[13:14], v[19:20], v[13:14]
	v_mul_f64 v[19:20], v[17:18], v[13:14]
	v_fma_f64 v[4:5], -v[4:5], v[19:20], v[17:18]
	v_div_fmas_f64 v[13:14], v[4:5], v[13:14], v[19:20]
	s_mov_b64 vcc, s[0:1]
	v_div_fmas_f64 v[4:5], v[8:9], v[15:16], v[23:24]
	v_mul_f64 v[8:9], s[24:25], 0.5
	v_div_fixup_f64 v[12:13], v[13:14], s[20:21], v[11:12]
	v_div_fixup_f64 v[15:16], v[4:5], s[22:23], 1.0
	v_mov_b32_e32 v4, 0
	v_mov_b32_e32 v5, 0
	v_div_scale_f64 v[17:18], s[0:1], s[22:23], s[22:23], v[15:16]
	v_rcp_f64_e32 v[19:20], v[17:18]
	v_fma_f64 v[21:22], -v[17:18], v[19:20], 1.0
	v_fma_f64 v[19:20], v[19:20], v[21:22], v[19:20]
	v_div_scale_f64 v[21:22], vcc, v[15:16], s[22:23], v[15:16]
	v_fma_f64 v[23:24], -v[17:18], v[19:20], 1.0
	v_fma_f64 v[19:20], v[19:20], v[23:24], v[19:20]
	v_mul_f64 v[23:24], v[21:22], v[19:20]
	v_fma_f64 v[17:18], -v[17:18], v[23:24], v[21:22]
	v_div_fmas_f64 v[17:18], v[17:18], v[19:20], v[23:24]
	v_div_fixup_f64 v[14:15], v[17:18], s[22:23], v[15:16]
	s_branch .LBB0_7
.LBB0_6:                                ;   in Loop: Header=BB0_7 Depth=1
	s_or_b64 exec, exec, s[82:83]
	v_add_f64 v[4:5], v[4:5], v[16:17]
	s_add_i32 s33, s33, 1
	s_cmp_eq_u32 s33, s19
	s_cbranch_scc1 .LBB0_18
.LBB0_7:                                ; =>This Loop Header: Depth=1
                                        ;     Child Loop BB0_10 Depth 2
	v_mov_b32_e32 v16, 0
	v_mov_b32_e32 v19, v3
	;; [unrolled: 1-line block ×4, first 2 shown]
	s_mov_b64 s[82:83], 0
	v_mov_b32_e32 v18, v2
	v_mov_b32_e32 v20, v0
	s_branch .LBB0_10
.LBB0_8:                                ;   in Loop: Header=BB0_10 Depth=2
	s_or_b64 exec, exec, s[2:3]
.LBB0_9:                                ;   in Loop: Header=BB0_10 Depth=2
	s_or_b64 exec, exec, s[0:1]
	v_div_scale_f64 v[22:23], s[0:1], s[20:21], s[20:21], v[20:21]
	s_mov_b32 s54, s44
	s_mov_b32 s56, s46
	v_rcp_f64_e32 v[24:25], v[22:23]
	v_fma_f64 v[30:31], -v[22:23], v[24:25], 1.0
	v_fma_f64 v[24:25], v[24:25], v[30:31], v[24:25]
	v_fma_f64 v[30:31], -v[22:23], v[24:25], 1.0
	v_fma_f64 v[24:25], v[24:25], v[30:31], v[24:25]
	v_div_scale_f64 v[30:31], vcc, v[20:21], s[20:21], v[20:21]
	v_mul_f64 v[32:33], v[30:31], v[24:25]
	v_fma_f64 v[22:23], -v[22:23], v[32:33], v[30:31]
	s_nop 1
	v_div_fmas_f64 v[22:23], v[22:23], v[24:25], v[32:33]
	v_div_fixup_f64 v[22:23], v[22:23], s[20:21], v[20:21]
	v_add_f64 v[20:21], v[20:21], v[28:29]
	v_div_scale_f64 v[24:25], s[0:1], s[20:21], s[20:21], v[22:23]
	v_rcp_f64_e32 v[30:31], v[24:25]
	v_fma_f64 v[32:33], -v[24:25], v[30:31], 1.0
	v_fma_f64 v[30:31], v[30:31], v[32:33], v[30:31]
	v_fma_f64 v[32:33], -v[24:25], v[30:31], 1.0
	v_fma_f64 v[30:31], v[30:31], v[32:33], v[30:31]
	v_div_scale_f64 v[32:33], vcc, v[22:23], s[20:21], v[22:23]
	v_mul_f64 v[34:35], v[32:33], v[30:31]
	v_fma_f64 v[24:25], -v[24:25], v[34:35], v[32:33]
	s_nop 1
	v_div_fmas_f64 v[24:25], v[24:25], v[30:31], v[34:35]
	v_div_fixup_f64 v[30:31], v[24:25], s[20:21], v[22:23]
	v_cmp_eq_f64_e32 vcc, 1.0, v[30:31]
	v_frexp_mant_f64_e64 v[22:23], |v[30:31]|
	v_frexp_exp_i32_f64_e32 v24, v[30:31]
	v_cmp_gt_f64_e64 s[2:3], 0, v[30:31]
	v_cndmask_b32_e32 v11, 2.0, v41, vcc
	v_cmp_gt_f64_e32 vcc, s[10:11], v[22:23]
	v_cndmask_b32_e64 v25, 0, 1, vcc
	v_ldexp_f64 v[22:23], v[22:23], v25
	v_subbrev_co_u32_e32 v46, vcc, 0, v24, vcc
	v_add_f64 v[32:33], v[22:23], 1.0
	v_add_f64 v[24:25], v[22:23], -1.0
	v_add_f64 v[34:35], v[32:33], -1.0
	v_add_f64 v[22:23], v[22:23], -v[34:35]
	v_rcp_f64_e32 v[34:35], v[32:33]
	v_fma_f64 v[36:37], -v[32:33], v[34:35], 1.0
	v_fma_f64 v[34:35], v[36:37], v[34:35], v[34:35]
	v_fma_f64 v[36:37], -v[32:33], v[34:35], 1.0
	v_fma_f64 v[34:35], v[36:37], v[34:35], v[34:35]
	v_mul_f64 v[36:37], v[24:25], v[34:35]
	v_mul_f64 v[38:39], v[32:33], v[36:37]
	v_fma_f64 v[32:33], v[36:37], v[32:33], -v[38:39]
	v_fma_f64 v[22:23], v[36:37], v[22:23], v[32:33]
	v_add_f64 v[32:33], v[38:39], v[22:23]
	v_add_f64 v[44:45], v[24:25], -v[32:33]
	v_add_f64 v[38:39], v[32:33], -v[38:39]
	;; [unrolled: 1-line block ×5, first 2 shown]
	v_add_f64 v[22:23], v[22:23], v[24:25]
	v_add_f64 v[22:23], v[44:45], v[22:23]
	v_cvt_f64_i32_e32 v[44:45], v46
	v_mul_f64 v[46:47], v[44:45], s[44:45]
	v_mul_f64 v[22:23], v[34:35], v[22:23]
	v_fma_f64 v[48:49], v[44:45], s[44:45], -v[46:47]
	v_add_f64 v[32:33], v[36:37], v[22:23]
	v_fma_f64 v[44:45], v[44:45], s[46:47], v[48:49]
	v_add_f64 v[24:25], v[32:33], -v[36:37]
	v_add_f64 v[48:49], v[46:47], v[44:45]
	v_add_f64 v[22:23], v[22:23], -v[24:25]
	v_mul_f64 v[24:25], v[32:33], v[32:33]
	v_add_f64 v[46:47], v[48:49], -v[46:47]
	v_add_f64 v[36:37], v[22:23], v[22:23]
	v_fma_f64 v[34:35], v[32:33], v[32:33], -v[24:25]
	v_ldexp_f64 v[50:51], v[22:23], 1
	v_add_f64 v[44:45], v[44:45], -v[46:47]
	v_ldexp_f64 v[46:47], v[32:33], 1
	v_fma_f64 v[34:35], v[32:33], v[36:37], v[34:35]
	v_add_f64 v[36:37], v[24:25], v[34:35]
	v_add_f64 v[24:25], v[36:37], -v[24:25]
	v_mul_f64 v[52:53], v[32:33], v[36:37]
	v_add_f64 v[34:35], v[34:35], -v[24:25]
	v_mov_b32_e32 v25, s15
	v_mov_b32_e32 v24, s14
	v_fma_f64 v[38:39], v[36:37], s[16:17], v[24:25]
	v_fma_f64 v[54:55], v[36:37], v[32:33], -v[52:53]
	v_fma_f64 v[38:39], v[36:37], v[38:39], s[28:29]
	v_fma_f64 v[22:23], v[36:37], v[22:23], v[54:55]
	;; [unrolled: 1-line block ×5, first 2 shown]
	v_add_f64 v[32:33], v[52:53], v[22:23]
	v_fma_f64 v[38:39], v[36:37], v[38:39], s[36:37]
	v_add_f64 v[52:53], v[32:33], -v[52:53]
	v_fma_f64 v[38:39], v[36:37], v[38:39], s[38:39]
	v_add_f64 v[22:23], v[22:23], -v[52:53]
	v_fma_f64 v[38:39], v[36:37], v[38:39], s[40:41]
	v_fma_f64 v[38:39], v[36:37], v[38:39], s[42:43]
	v_mul_f64 v[52:53], v[36:37], v[38:39]
	v_fma_f64 v[36:37], v[36:37], v[38:39], -v[52:53]
	v_fma_f64 v[34:35], v[34:35], v[38:39], v[36:37]
	v_add_f64 v[36:37], v[52:53], v[34:35]
	v_add_f64 v[38:39], v[36:37], -v[52:53]
	v_add_f64 v[34:35], v[34:35], -v[38:39]
	v_add_f64 v[38:39], v[36:37], s[10:11]
	v_add_f64 v[34:35], v[34:35], s[48:49]
	;; [unrolled: 1-line block ×3, first 2 shown]
	v_add_f64 v[36:37], v[36:37], -v[52:53]
	v_add_f64 v[34:35], v[34:35], v[36:37]
	v_add_f64 v[36:37], v[38:39], v[34:35]
	v_add_f64 v[38:39], v[38:39], -v[36:37]
	v_add_f64 v[34:35], v[34:35], v[38:39]
	v_mul_f64 v[38:39], v[32:33], v[36:37]
	v_fma_f64 v[52:53], v[32:33], v[36:37], -v[38:39]
	v_fma_f64 v[32:33], v[32:33], v[34:35], v[52:53]
	v_fma_f64 v[22:23], v[22:23], v[36:37], v[32:33]
	v_add_f64 v[32:33], v[38:39], v[22:23]
	v_add_f64 v[34:35], v[32:33], -v[38:39]
	v_add_f64 v[22:23], v[22:23], -v[34:35]
	v_add_f64 v[34:35], v[46:47], v[32:33]
	v_add_f64 v[22:23], v[50:51], v[22:23]
	v_add_f64 v[36:37], v[34:35], -v[46:47]
	v_add_f64 v[32:33], v[32:33], -v[36:37]
	v_add_f64 v[22:23], v[22:23], v[32:33]
	;; [unrolled: 4-line block ×3, first 2 shown]
	v_add_f64 v[36:37], v[34:35], -v[48:49]
	v_add_f64 v[38:39], v[34:35], -v[36:37]
	;; [unrolled: 1-line block ×3, first 2 shown]
	v_add_f64 v[36:37], v[44:45], v[22:23]
	v_add_f64 v[38:39], v[48:49], -v[38:39]
	v_add_f64 v[32:33], v[32:33], v[38:39]
	v_add_f64 v[38:39], v[36:37], -v[44:45]
	;; [unrolled: 2-line block ×3, first 2 shown]
	v_add_f64 v[22:23], v[22:23], -v[38:39]
	v_add_f64 v[36:37], v[34:35], v[32:33]
	v_add_f64 v[44:45], v[44:45], -v[46:47]
	v_add_f64 v[34:35], v[36:37], -v[34:35]
	v_add_f64 v[22:23], v[22:23], v[44:45]
	v_add_f64 v[32:33], v[32:33], -v[34:35]
	v_add_f64 v[22:23], v[22:23], v[32:33]
	v_add_f64 v[32:33], v[36:37], v[22:23]
	v_add_f64 v[34:35], v[32:33], -v[36:37]
	v_add_f64 v[22:23], v[22:23], -v[34:35]
	v_mul_f64 v[34:35], v[10:11], v[32:33]
	v_fma_f64 v[32:33], v[10:11], v[32:33], -v[34:35]
	v_cmp_class_f64_e64 vcc, v[34:35], s88
	v_fma_f64 v[22:23], v[10:11], v[22:23], v[32:33]
	v_add_f64 v[32:33], v[34:35], v[22:23]
	v_add_f64 v[36:37], v[32:33], -v[34:35]
	v_cndmask_b32_e32 v33, v33, v35, vcc
	v_cndmask_b32_e32 v32, v32, v34, vcc
	v_cmp_neq_f64_e64 vcc, |v[32:33]|, s[50:51]
	v_cmp_ngt_f64_e64 s[0:1], s[80:81], v[32:33]
	v_add_f64 v[22:23], v[22:23], -v[36:37]
	v_cndmask_b32_e32 v35, 0, v23, vcc
	v_cndmask_b32_e32 v34, 0, v22, vcc
	v_mul_f64 v[22:23], v[32:33], s[52:53]
	v_cmp_nlt_f64_e32 vcc, s[78:79], v[32:33]
	v_rndne_f64_e32 v[36:37], v[22:23]
	v_fma_f64 v[22:23], v[36:37], s[54:55], v[32:33]
	v_fma_f64 v[38:39], v[36:37], s[56:57], v[22:23]
	v_mov_b32_e32 v22, s58
	v_mov_b32_e32 v23, s59
	v_cvt_i32_f64_e32 v36, v[36:37]
	v_fma_f64 v[44:45], v[38:39], s[60:61], v[22:23]
	v_fma_f64 v[44:45], v[38:39], v[44:45], s[62:63]
	;; [unrolled: 1-line block ×9, first 2 shown]
	v_fma_f64 v[44:45], v[38:39], v[44:45], 1.0
	v_fma_f64 v[38:39], v[38:39], v[44:45], 1.0
	v_ldexp_f64 v[36:37], v[38:39], v36
	v_cndmask_b32_e32 v37, v42, v37, vcc
	s_and_b64 vcc, s[0:1], vcc
	v_cndmask_b32_e32 v32, 0, v36, vcc
	v_cndmask_b32_e64 v33, 0, v37, s[0:1]
	v_fma_f64 v[34:35], v[32:33], v[34:35], v[32:33]
	v_cmp_class_f64_e64 vcc, v[32:33], s88
	v_cndmask_b32_e32 v36, v34, v32, vcc
	v_cndmask_b32_e32 v37, v35, v33, vcc
	v_trunc_f64_e32 v[32:33], v[10:11]
	v_cmp_eq_f64_e32 vcc, v[32:33], v[10:11]
	v_mul_f64 v[32:33], v[10:11], 0.5
	v_trunc_f64_e32 v[34:35], v[32:33]
	v_cmp_neq_f64_e64 s[0:1], v[34:35], v[32:33]
	v_cndmask_b32_e32 v33, 0, v36, vcc
	v_cndmask_b32_e64 v33, v36, v33, s[2:3]
	s_and_b64 s[0:1], vcc, s[0:1]
	v_cndmask_b32_e64 v11, v41, v31, s[0:1]
	v_bfi_b32 v11, s87, v37, v11
	v_cndmask_b32_e32 v32, v43, v11, vcc
	v_cndmask_b32_e64 v11, v11, v32, s[2:3]
	v_cmp_class_f64_e64 s[2:3], v[30:31], s88
	v_cmp_eq_f64_e32 vcc, 0, v[30:31]
	v_cndmask_b32_e64 v34, 0, v31, s[0:1]
	s_or_b64 s[2:3], vcc, s[2:3]
	v_cndmask_b32_e64 v32, v42, 0, vcc
	v_cmp_o_f64_e32 vcc, v[30:31], v[30:31]
	v_bfi_b32 v32, s87, v32, v34
	v_cndmask_b32_e64 v11, v11, v32, s[2:3]
	v_cndmask_b32_e64 v32, v33, 0, s[2:3]
	v_cndmask_b32_e32 v30, 0, v32, vcc
	v_div_scale_f64 v[32:33], s[0:1], s[22:23], s[22:23], v[18:19]
	v_cndmask_b32_e32 v31, v43, v11, vcc
	v_rcp_f64_e32 v[34:35], v[32:33]
	v_fma_f64 v[36:37], -v[32:33], v[34:35], 1.0
	v_fma_f64 v[34:35], v[34:35], v[36:37], v[34:35]
	v_fma_f64 v[36:37], -v[32:33], v[34:35], 1.0
	v_fma_f64 v[34:35], v[34:35], v[36:37], v[34:35]
	v_div_scale_f64 v[36:37], vcc, v[18:19], s[22:23], v[18:19]
	v_mul_f64 v[38:39], v[36:37], v[34:35]
	v_fma_f64 v[32:33], -v[32:33], v[38:39], v[36:37]
	s_nop 1
	v_div_fmas_f64 v[32:33], v[32:33], v[34:35], v[38:39]
	v_div_fixup_f64 v[32:33], v[32:33], s[22:23], v[18:19]
	v_add_f64 v[18:19], v[18:19], v[26:27]
	v_div_scale_f64 v[34:35], s[0:1], s[22:23], s[22:23], v[32:33]
	v_rcp_f64_e32 v[36:37], v[34:35]
	v_fma_f64 v[38:39], -v[34:35], v[36:37], 1.0
	v_fma_f64 v[36:37], v[36:37], v[38:39], v[36:37]
	v_fma_f64 v[38:39], -v[34:35], v[36:37], 1.0
	v_fma_f64 v[36:37], v[36:37], v[38:39], v[36:37]
	v_div_scale_f64 v[38:39], vcc, v[32:33], s[22:23], v[32:33]
	v_mul_f64 v[44:45], v[38:39], v[36:37]
	v_fma_f64 v[34:35], -v[34:35], v[44:45], v[38:39]
	s_nop 1
	v_div_fmas_f64 v[34:35], v[34:35], v[36:37], v[44:45]
	v_div_fixup_f64 v[32:33], v[34:35], s[22:23], v[32:33]
	v_cmp_eq_f64_e32 vcc, 1.0, v[32:33]
	v_frexp_mant_f64_e64 v[34:35], |v[32:33]|
	v_frexp_exp_i32_f64_e32 v36, v[32:33]
	v_cmp_gt_f64_e64 s[2:3], 0, v[32:33]
	v_cndmask_b32_e32 v11, 2.0, v41, vcc
	v_cmp_gt_f64_e32 vcc, s[10:11], v[34:35]
	v_cndmask_b32_e64 v37, 0, 1, vcc
	v_ldexp_f64 v[34:35], v[34:35], v37
	v_subbrev_co_u32_e32 v52, vcc, 0, v36, vcc
	v_add_f64 v[38:39], v[34:35], 1.0
	v_add_f64 v[36:37], v[34:35], -1.0
	v_add_f64 v[44:45], v[38:39], -1.0
	v_add_f64 v[34:35], v[34:35], -v[44:45]
	v_rcp_f64_e32 v[44:45], v[38:39]
	v_fma_f64 v[46:47], -v[38:39], v[44:45], 1.0
	v_fma_f64 v[44:45], v[46:47], v[44:45], v[44:45]
	v_fma_f64 v[46:47], -v[38:39], v[44:45], 1.0
	v_fma_f64 v[44:45], v[46:47], v[44:45], v[44:45]
	v_mul_f64 v[46:47], v[36:37], v[44:45]
	v_mul_f64 v[48:49], v[38:39], v[46:47]
	v_fma_f64 v[38:39], v[46:47], v[38:39], -v[48:49]
	v_fma_f64 v[34:35], v[46:47], v[34:35], v[38:39]
	v_add_f64 v[38:39], v[48:49], v[34:35]
	v_add_f64 v[50:51], v[36:37], -v[38:39]
	v_add_f64 v[48:49], v[38:39], -v[48:49]
	;; [unrolled: 1-line block ×4, first 2 shown]
	v_cvt_f64_i32_e32 v[48:49], v52
	v_add_f64 v[36:37], v[36:37], -v[38:39]
	v_add_f64 v[34:35], v[34:35], v[36:37]
	v_add_f64 v[34:35], v[50:51], v[34:35]
	v_mul_f64 v[50:51], v[48:49], s[44:45]
	v_mul_f64 v[34:35], v[44:45], v[34:35]
	v_fma_f64 v[52:53], v[48:49], s[44:45], -v[50:51]
	v_add_f64 v[36:37], v[46:47], v[34:35]
	v_fma_f64 v[48:49], v[48:49], s[46:47], v[52:53]
	v_add_f64 v[38:39], v[36:37], -v[46:47]
	v_add_f64 v[52:53], v[50:51], v[48:49]
	v_add_f64 v[34:35], v[34:35], -v[38:39]
	v_mul_f64 v[38:39], v[36:37], v[36:37]
	v_add_f64 v[50:51], v[52:53], -v[50:51]
	v_add_f64 v[46:47], v[34:35], v[34:35]
	v_fma_f64 v[44:45], v[36:37], v[36:37], -v[38:39]
	v_ldexp_f64 v[54:55], v[34:35], 1
	v_add_f64 v[48:49], v[48:49], -v[50:51]
	v_ldexp_f64 v[50:51], v[36:37], 1
	v_fma_f64 v[44:45], v[36:37], v[46:47], v[44:45]
	v_add_f64 v[46:47], v[38:39], v[44:45]
	v_add_f64 v[38:39], v[46:47], -v[38:39]
	v_mul_f64 v[56:57], v[36:37], v[46:47]
	v_add_f64 v[38:39], v[44:45], -v[38:39]
	v_fma_f64 v[44:45], v[46:47], s[16:17], v[24:25]
	v_fma_f64 v[58:59], v[46:47], v[36:37], -v[56:57]
	v_fma_f64 v[44:45], v[46:47], v[44:45], s[28:29]
	v_fma_f64 v[34:35], v[46:47], v[34:35], v[58:59]
	;; [unrolled: 1-line block ×5, first 2 shown]
	v_add_f64 v[36:37], v[56:57], v[34:35]
	v_fma_f64 v[44:45], v[46:47], v[44:45], s[36:37]
	v_add_f64 v[56:57], v[36:37], -v[56:57]
	v_fma_f64 v[44:45], v[46:47], v[44:45], s[38:39]
	v_add_f64 v[34:35], v[34:35], -v[56:57]
	v_fma_f64 v[44:45], v[46:47], v[44:45], s[40:41]
	v_fma_f64 v[44:45], v[46:47], v[44:45], s[42:43]
	v_mul_f64 v[56:57], v[46:47], v[44:45]
	v_fma_f64 v[46:47], v[46:47], v[44:45], -v[56:57]
	v_fma_f64 v[38:39], v[38:39], v[44:45], v[46:47]
	v_add_f64 v[44:45], v[56:57], v[38:39]
	v_add_f64 v[46:47], v[44:45], -v[56:57]
	v_add_f64 v[38:39], v[38:39], -v[46:47]
	v_add_f64 v[46:47], v[44:45], s[10:11]
	v_add_f64 v[38:39], v[38:39], s[48:49]
	;; [unrolled: 1-line block ×3, first 2 shown]
	v_add_f64 v[44:45], v[44:45], -v[56:57]
	v_add_f64 v[38:39], v[38:39], v[44:45]
	v_add_f64 v[44:45], v[46:47], v[38:39]
	v_add_f64 v[46:47], v[46:47], -v[44:45]
	v_add_f64 v[38:39], v[38:39], v[46:47]
	v_mul_f64 v[46:47], v[36:37], v[44:45]
	v_fma_f64 v[56:57], v[36:37], v[44:45], -v[46:47]
	v_fma_f64 v[36:37], v[36:37], v[38:39], v[56:57]
	v_fma_f64 v[34:35], v[34:35], v[44:45], v[36:37]
	v_add_f64 v[36:37], v[46:47], v[34:35]
	v_add_f64 v[38:39], v[36:37], -v[46:47]
	v_add_f64 v[34:35], v[34:35], -v[38:39]
	v_add_f64 v[38:39], v[50:51], v[36:37]
	v_add_f64 v[34:35], v[54:55], v[34:35]
	v_add_f64 v[44:45], v[38:39], -v[50:51]
	v_add_f64 v[36:37], v[36:37], -v[44:45]
	v_add_f64 v[34:35], v[34:35], v[36:37]
	;; [unrolled: 4-line block ×3, first 2 shown]
	v_add_f64 v[44:45], v[38:39], -v[52:53]
	v_add_f64 v[46:47], v[38:39], -v[44:45]
	;; [unrolled: 1-line block ×3, first 2 shown]
	v_add_f64 v[44:45], v[48:49], v[34:35]
	v_add_f64 v[46:47], v[52:53], -v[46:47]
	v_add_f64 v[36:37], v[36:37], v[46:47]
	v_add_f64 v[46:47], v[44:45], -v[48:49]
	;; [unrolled: 2-line block ×3, first 2 shown]
	v_add_f64 v[34:35], v[34:35], -v[46:47]
	v_add_f64 v[44:45], v[38:39], v[36:37]
	v_add_f64 v[48:49], v[48:49], -v[50:51]
	v_add_f64 v[38:39], v[44:45], -v[38:39]
	v_add_f64 v[34:35], v[34:35], v[48:49]
	v_add_f64 v[36:37], v[36:37], -v[38:39]
	v_add_f64 v[34:35], v[34:35], v[36:37]
	v_add_f64 v[36:37], v[44:45], v[34:35]
	v_add_f64 v[38:39], v[36:37], -v[44:45]
	v_add_f64 v[34:35], v[34:35], -v[38:39]
	v_mul_f64 v[38:39], v[10:11], v[36:37]
	v_fma_f64 v[36:37], v[10:11], v[36:37], -v[38:39]
	v_cmp_class_f64_e64 vcc, v[38:39], s88
	v_fma_f64 v[34:35], v[10:11], v[34:35], v[36:37]
	v_add_f64 v[36:37], v[38:39], v[34:35]
	v_add_f64 v[44:45], v[36:37], -v[38:39]
	v_cndmask_b32_e32 v37, v37, v39, vcc
	v_cndmask_b32_e32 v36, v36, v38, vcc
	v_mul_f64 v[38:39], v[36:37], s[52:53]
	v_cmp_neq_f64_e64 vcc, |v[36:37]|, s[50:51]
	v_cmp_ngt_f64_e64 s[0:1], s[80:81], v[36:37]
	v_add_f64 v[34:35], v[34:35], -v[44:45]
	v_rndne_f64_e32 v[38:39], v[38:39]
	v_cndmask_b32_e32 v35, 0, v35, vcc
	v_cndmask_b32_e32 v34, 0, v34, vcc
	v_cmp_nlt_f64_e32 vcc, s[78:79], v[36:37]
	v_fma_f64 v[44:45], v[38:39], s[54:55], v[36:37]
	v_fma_f64 v[44:45], v[38:39], s[56:57], v[44:45]
	v_cvt_i32_f64_e32 v38, v[38:39]
	v_fma_f64 v[46:47], v[44:45], s[60:61], v[22:23]
	v_fma_f64 v[46:47], v[44:45], v[46:47], s[62:63]
	;; [unrolled: 1-line block ×9, first 2 shown]
	v_fma_f64 v[46:47], v[44:45], v[46:47], 1.0
	v_fma_f64 v[44:45], v[44:45], v[46:47], 1.0
	v_ldexp_f64 v[38:39], v[44:45], v38
	v_cndmask_b32_e32 v39, v42, v39, vcc
	s_and_b64 vcc, s[0:1], vcc
	v_cndmask_b32_e32 v36, 0, v38, vcc
	v_cndmask_b32_e64 v37, 0, v39, s[0:1]
	v_fma_f64 v[34:35], v[36:37], v[34:35], v[36:37]
	v_cmp_class_f64_e64 vcc, v[36:37], s88
	v_cndmask_b32_e32 v38, v34, v36, vcc
	v_cndmask_b32_e32 v39, v35, v37, vcc
	v_trunc_f64_e32 v[34:35], v[10:11]
	v_cmp_eq_f64_e32 vcc, v[34:35], v[10:11]
	v_mul_f64 v[34:35], v[10:11], 0.5
	v_trunc_f64_e32 v[36:37], v[34:35]
	v_cmp_neq_f64_e64 s[0:1], v[36:37], v[34:35]
	v_cndmask_b32_e32 v35, 0, v38, vcc
	v_cndmask_b32_e64 v35, v38, v35, s[2:3]
	s_and_b64 s[0:1], vcc, s[0:1]
	v_cndmask_b32_e64 v11, v41, v33, s[0:1]
	v_cndmask_b32_e64 v36, 0, v33, s[0:1]
	v_div_scale_f64 v[26:27], s[0:1], s[20:21], s[20:21], v[20:21]
	v_bfi_b32 v11, s87, v39, v11
	v_cndmask_b32_e32 v34, v43, v11, vcc
	v_cndmask_b32_e64 v11, v11, v34, s[2:3]
	v_cmp_class_f64_e64 s[2:3], v[32:33], s88
	v_cmp_eq_f64_e32 vcc, 0, v[32:33]
	s_or_b64 s[2:3], vcc, s[2:3]
	v_cndmask_b32_e64 v34, v42, 0, vcc
	v_rcp_f64_e32 v[28:29], v[26:27]
	v_cmp_o_f64_e32 vcc, v[32:33], v[32:33]
	v_bfi_b32 v34, s87, v34, v36
	v_cndmask_b32_e64 v11, v11, v34, s[2:3]
	v_cndmask_b32_e64 v34, v35, 0, s[2:3]
	v_cndmask_b32_e32 v32, 0, v34, vcc
	v_cndmask_b32_e32 v33, v43, v11, vcc
	v_add_f64 v[30:31], v[30:31], v[32:33]
	v_fma_f64 v[32:33], -v[26:27], v[28:29], 1.0
	v_fma_f64 v[30:31], v[30:31], 2.0, v[12:13]
	v_fma_f64 v[28:29], v[28:29], v[32:33], v[28:29]
	v_add_f64 v[30:31], v[14:15], v[30:31]
	v_fma_f64 v[32:33], -v[26:27], v[28:29], 1.0
	v_fma_f64 v[28:29], v[28:29], v[32:33], v[28:29]
	v_div_scale_f64 v[32:33], vcc, v[20:21], s[20:21], v[20:21]
	v_mul_f64 v[34:35], v[32:33], v[28:29]
	v_fma_f64 v[26:27], -v[26:27], v[34:35], v[32:33]
	s_nop 1
	v_div_fmas_f64 v[26:27], v[26:27], v[28:29], v[34:35]
	v_div_fixup_f64 v[28:29], v[26:27], s[20:21], v[20:21]
	v_div_scale_f64 v[26:27], s[0:1], s[20:21], s[20:21], v[28:29]
	v_rcp_f64_e32 v[32:33], v[26:27]
	v_fma_f64 v[34:35], -v[26:27], v[32:33], 1.0
	v_fma_f64 v[32:33], v[32:33], v[34:35], v[32:33]
	v_fma_f64 v[34:35], -v[26:27], v[32:33], 1.0
	v_fma_f64 v[32:33], v[32:33], v[34:35], v[32:33]
	v_div_scale_f64 v[34:35], vcc, v[28:29], s[20:21], v[28:29]
	v_mul_f64 v[36:37], v[34:35], v[32:33]
	v_fma_f64 v[26:27], -v[26:27], v[36:37], v[34:35]
	s_nop 1
	v_div_fmas_f64 v[26:27], v[26:27], v[32:33], v[36:37]
	v_div_fixup_f64 v[26:27], v[26:27], s[20:21], v[28:29]
	v_cmp_eq_f64_e32 vcc, 1.0, v[26:27]
	v_frexp_mant_f64_e64 v[32:33], |v[26:27]|
	v_frexp_exp_i32_f64_e32 v34, v[26:27]
	v_cmp_gt_f64_e64 s[2:3], 0, v[26:27]
	v_cndmask_b32_e32 v11, 2.0, v41, vcc
	v_cmp_gt_f64_e32 vcc, s[10:11], v[32:33]
	v_cndmask_b32_e64 v35, 0, 1, vcc
	v_ldexp_f64 v[32:33], v[32:33], v35
	v_subbrev_co_u32_e32 v50, vcc, 0, v34, vcc
	v_add_f64 v[36:37], v[32:33], 1.0
	v_add_f64 v[34:35], v[32:33], -1.0
	v_add_f64 v[38:39], v[36:37], -1.0
	v_add_f64 v[32:33], v[32:33], -v[38:39]
	v_rcp_f64_e32 v[38:39], v[36:37]
	v_fma_f64 v[44:45], -v[36:37], v[38:39], 1.0
	v_fma_f64 v[38:39], v[44:45], v[38:39], v[38:39]
	v_fma_f64 v[44:45], -v[36:37], v[38:39], 1.0
	v_fma_f64 v[38:39], v[44:45], v[38:39], v[38:39]
	v_mul_f64 v[44:45], v[34:35], v[38:39]
	v_mul_f64 v[46:47], v[36:37], v[44:45]
	v_fma_f64 v[36:37], v[44:45], v[36:37], -v[46:47]
	v_fma_f64 v[32:33], v[44:45], v[32:33], v[36:37]
	v_add_f64 v[36:37], v[46:47], v[32:33]
	v_add_f64 v[48:49], v[34:35], -v[36:37]
	v_add_f64 v[46:47], v[36:37], -v[46:47]
	;; [unrolled: 1-line block ×4, first 2 shown]
	v_cvt_f64_i32_e32 v[46:47], v50
	v_add_f64 v[34:35], v[34:35], -v[36:37]
	v_add_f64 v[32:33], v[32:33], v[34:35]
	v_add_f64 v[32:33], v[48:49], v[32:33]
	v_mul_f64 v[48:49], v[46:47], s[44:45]
	v_mul_f64 v[32:33], v[38:39], v[32:33]
	v_fma_f64 v[50:51], v[46:47], s[44:45], -v[48:49]
	v_add_f64 v[34:35], v[44:45], v[32:33]
	v_fma_f64 v[46:47], v[46:47], s[46:47], v[50:51]
	v_add_f64 v[36:37], v[34:35], -v[44:45]
	v_add_f64 v[50:51], v[48:49], v[46:47]
	v_add_f64 v[32:33], v[32:33], -v[36:37]
	v_mul_f64 v[36:37], v[34:35], v[34:35]
	v_add_f64 v[48:49], v[50:51], -v[48:49]
	v_add_f64 v[44:45], v[32:33], v[32:33]
	v_fma_f64 v[38:39], v[34:35], v[34:35], -v[36:37]
	v_ldexp_f64 v[52:53], v[32:33], 1
	v_add_f64 v[46:47], v[46:47], -v[48:49]
	v_ldexp_f64 v[48:49], v[34:35], 1
	v_fma_f64 v[38:39], v[34:35], v[44:45], v[38:39]
	v_add_f64 v[44:45], v[36:37], v[38:39]
	v_add_f64 v[36:37], v[44:45], -v[36:37]
	v_mul_f64 v[54:55], v[34:35], v[44:45]
	v_add_f64 v[36:37], v[38:39], -v[36:37]
	v_fma_f64 v[38:39], v[44:45], s[16:17], v[24:25]
	v_fma_f64 v[56:57], v[44:45], v[34:35], -v[54:55]
	v_fma_f64 v[38:39], v[44:45], v[38:39], s[28:29]
	v_fma_f64 v[32:33], v[44:45], v[32:33], v[56:57]
	;; [unrolled: 1-line block ×5, first 2 shown]
	v_add_f64 v[34:35], v[54:55], v[32:33]
	v_fma_f64 v[38:39], v[44:45], v[38:39], s[36:37]
	v_add_f64 v[54:55], v[34:35], -v[54:55]
	v_fma_f64 v[38:39], v[44:45], v[38:39], s[38:39]
	v_add_f64 v[32:33], v[32:33], -v[54:55]
	v_fma_f64 v[38:39], v[44:45], v[38:39], s[40:41]
	v_fma_f64 v[38:39], v[44:45], v[38:39], s[42:43]
	v_mul_f64 v[54:55], v[44:45], v[38:39]
	v_fma_f64 v[44:45], v[44:45], v[38:39], -v[54:55]
	v_fma_f64 v[36:37], v[36:37], v[38:39], v[44:45]
	v_add_f64 v[38:39], v[54:55], v[36:37]
	v_add_f64 v[44:45], v[38:39], -v[54:55]
	v_add_f64 v[36:37], v[36:37], -v[44:45]
	v_add_f64 v[44:45], v[38:39], s[10:11]
	v_add_f64 v[36:37], v[36:37], s[48:49]
	v_add_f64 v[54:55], v[44:45], s[12:13]
	v_add_f64 v[38:39], v[38:39], -v[54:55]
	v_add_f64 v[36:37], v[36:37], v[38:39]
	v_add_f64 v[38:39], v[44:45], v[36:37]
	v_add_f64 v[44:45], v[44:45], -v[38:39]
	v_add_f64 v[36:37], v[36:37], v[44:45]
	v_mul_f64 v[44:45], v[34:35], v[38:39]
	v_fma_f64 v[54:55], v[34:35], v[38:39], -v[44:45]
	v_fma_f64 v[34:35], v[34:35], v[36:37], v[54:55]
	v_fma_f64 v[32:33], v[32:33], v[38:39], v[34:35]
	v_add_f64 v[34:35], v[44:45], v[32:33]
	v_add_f64 v[36:37], v[34:35], -v[44:45]
	v_add_f64 v[32:33], v[32:33], -v[36:37]
	v_add_f64 v[36:37], v[48:49], v[34:35]
	v_add_f64 v[32:33], v[52:53], v[32:33]
	v_add_f64 v[38:39], v[36:37], -v[48:49]
	v_add_f64 v[34:35], v[34:35], -v[38:39]
	v_add_f64 v[32:33], v[32:33], v[34:35]
	;; [unrolled: 4-line block ×3, first 2 shown]
	v_add_f64 v[38:39], v[36:37], -v[50:51]
	v_add_f64 v[44:45], v[36:37], -v[38:39]
	;; [unrolled: 1-line block ×3, first 2 shown]
	v_add_f64 v[38:39], v[46:47], v[32:33]
	v_add_f64 v[44:45], v[50:51], -v[44:45]
	v_add_f64 v[34:35], v[34:35], v[44:45]
	v_add_f64 v[44:45], v[38:39], -v[46:47]
	;; [unrolled: 2-line block ×3, first 2 shown]
	v_add_f64 v[32:33], v[32:33], -v[44:45]
	v_add_f64 v[38:39], v[36:37], v[34:35]
	v_add_f64 v[46:47], v[46:47], -v[48:49]
	v_add_f64 v[36:37], v[38:39], -v[36:37]
	v_add_f64 v[32:33], v[32:33], v[46:47]
	v_add_f64 v[34:35], v[34:35], -v[36:37]
	v_add_f64 v[32:33], v[32:33], v[34:35]
	v_add_f64 v[34:35], v[38:39], v[32:33]
	v_add_f64 v[36:37], v[34:35], -v[38:39]
	v_add_f64 v[32:33], v[32:33], -v[36:37]
	v_mul_f64 v[36:37], v[10:11], v[34:35]
	v_fma_f64 v[34:35], v[10:11], v[34:35], -v[36:37]
	v_cmp_class_f64_e64 vcc, v[36:37], s88
	v_fma_f64 v[32:33], v[10:11], v[32:33], v[34:35]
	v_add_f64 v[34:35], v[36:37], v[32:33]
	v_add_f64 v[38:39], v[34:35], -v[36:37]
	v_cndmask_b32_e32 v35, v35, v37, vcc
	v_cndmask_b32_e32 v34, v34, v36, vcc
	v_mul_f64 v[36:37], v[34:35], s[52:53]
	v_cmp_neq_f64_e64 vcc, |v[34:35]|, s[50:51]
	v_cmp_ngt_f64_e64 s[0:1], s[80:81], v[34:35]
	v_add_f64 v[32:33], v[32:33], -v[38:39]
	v_rndne_f64_e32 v[36:37], v[36:37]
	v_cndmask_b32_e32 v33, 0, v33, vcc
	v_cndmask_b32_e32 v32, 0, v32, vcc
	v_cmp_nlt_f64_e32 vcc, s[78:79], v[34:35]
	v_fma_f64 v[38:39], v[36:37], s[54:55], v[34:35]
	v_fma_f64 v[38:39], v[36:37], s[56:57], v[38:39]
	v_cvt_i32_f64_e32 v36, v[36:37]
	v_fma_f64 v[44:45], v[38:39], s[60:61], v[22:23]
	v_fma_f64 v[44:45], v[38:39], v[44:45], s[62:63]
	;; [unrolled: 1-line block ×9, first 2 shown]
	v_fma_f64 v[44:45], v[38:39], v[44:45], 1.0
	v_fma_f64 v[38:39], v[38:39], v[44:45], 1.0
	v_ldexp_f64 v[36:37], v[38:39], v36
	v_cndmask_b32_e32 v37, v42, v37, vcc
	s_and_b64 vcc, s[0:1], vcc
	v_cndmask_b32_e32 v34, 0, v36, vcc
	v_cndmask_b32_e64 v35, 0, v37, s[0:1]
	v_fma_f64 v[32:33], v[34:35], v[32:33], v[34:35]
	v_cmp_class_f64_e64 vcc, v[34:35], s88
	v_cndmask_b32_e32 v36, v32, v34, vcc
	v_cndmask_b32_e32 v37, v33, v35, vcc
	v_trunc_f64_e32 v[32:33], v[10:11]
	v_cmp_eq_f64_e32 vcc, v[32:33], v[10:11]
	v_mul_f64 v[32:33], v[10:11], 0.5
	v_trunc_f64_e32 v[34:35], v[32:33]
	v_cmp_neq_f64_e64 s[0:1], v[34:35], v[32:33]
	v_cndmask_b32_e32 v33, 0, v36, vcc
	v_cndmask_b32_e64 v33, v36, v33, s[2:3]
	s_and_b64 s[0:1], vcc, s[0:1]
	v_cndmask_b32_e64 v11, v41, v27, s[0:1]
	v_bfi_b32 v11, s87, v37, v11
	v_cndmask_b32_e32 v32, v43, v11, vcc
	v_cndmask_b32_e64 v11, v11, v32, s[2:3]
	v_cmp_class_f64_e64 s[2:3], v[26:27], s88
	v_cmp_eq_f64_e32 vcc, 0, v[26:27]
	v_cndmask_b32_e64 v34, 0, v27, s[0:1]
	s_or_b64 s[2:3], vcc, s[2:3]
	v_cndmask_b32_e64 v32, v42, 0, vcc
	v_cmp_o_f64_e32 vcc, v[26:27], v[26:27]
	v_div_scale_f64 v[26:27], s[0:1], s[22:23], s[22:23], v[18:19]
	v_bfi_b32 v32, s87, v32, v34
	v_cndmask_b32_e64 v11, v11, v32, s[2:3]
	v_cndmask_b32_e64 v32, v33, 0, s[2:3]
	v_cndmask_b32_e32 v32, 0, v32, vcc
	v_cndmask_b32_e32 v33, v43, v11, vcc
	v_rcp_f64_e32 v[34:35], v[26:27]
	v_fma_f64 v[36:37], -v[26:27], v[34:35], 1.0
	v_fma_f64 v[34:35], v[34:35], v[36:37], v[34:35]
	v_fma_f64 v[36:37], -v[26:27], v[34:35], 1.0
	v_fma_f64 v[34:35], v[34:35], v[36:37], v[34:35]
	v_div_scale_f64 v[36:37], vcc, v[18:19], s[22:23], v[18:19]
	v_mul_f64 v[38:39], v[36:37], v[34:35]
	v_fma_f64 v[26:27], -v[26:27], v[38:39], v[36:37]
	s_nop 1
	v_div_fmas_f64 v[26:27], v[26:27], v[34:35], v[38:39]
	v_div_fixup_f64 v[26:27], v[26:27], s[22:23], v[18:19]
	v_div_scale_f64 v[34:35], s[0:1], s[22:23], s[22:23], v[26:27]
	v_cmp_class_f64_e64 s[90:91], v[26:27], s88
	v_rcp_f64_e32 v[36:37], v[34:35]
	v_fma_f64 v[38:39], -v[34:35], v[36:37], 1.0
	v_fma_f64 v[36:37], v[36:37], v[38:39], v[36:37]
	v_fma_f64 v[38:39], -v[34:35], v[36:37], 1.0
	v_fma_f64 v[36:37], v[36:37], v[38:39], v[36:37]
	v_div_scale_f64 v[38:39], vcc, v[26:27], s[22:23], v[26:27]
	v_mul_f64 v[44:45], v[38:39], v[36:37]
	v_fma_f64 v[34:35], -v[34:35], v[44:45], v[38:39]
	s_nop 1
	v_div_fmas_f64 v[34:35], v[34:35], v[36:37], v[44:45]
	v_div_fixup_f64 v[34:35], v[34:35], s[22:23], v[26:27]
	v_cmp_eq_f64_e32 vcc, 1.0, v[34:35]
	v_frexp_mant_f64_e64 v[36:37], |v[34:35]|
	v_frexp_exp_i32_f64_e32 v38, v[34:35]
	v_cmp_gt_f64_e64 s[2:3], 0, v[34:35]
	v_cndmask_b32_e32 v11, 2.0, v41, vcc
	v_cmp_gt_f64_e32 vcc, s[10:11], v[36:37]
	v_cndmask_b32_e64 v39, 0, 1, vcc
	v_ldexp_f64 v[36:37], v[36:37], v39
	v_subbrev_co_u32_e32 v54, vcc, 0, v38, vcc
	v_add_f64 v[44:45], v[36:37], 1.0
	v_add_f64 v[38:39], v[36:37], -1.0
	v_add_f64 v[46:47], v[44:45], -1.0
	v_add_f64 v[36:37], v[36:37], -v[46:47]
	v_rcp_f64_e32 v[46:47], v[44:45]
	v_fma_f64 v[48:49], -v[44:45], v[46:47], 1.0
	v_fma_f64 v[46:47], v[48:49], v[46:47], v[46:47]
	v_fma_f64 v[48:49], -v[44:45], v[46:47], 1.0
	v_fma_f64 v[46:47], v[48:49], v[46:47], v[46:47]
	v_mul_f64 v[48:49], v[38:39], v[46:47]
	v_mul_f64 v[50:51], v[44:45], v[48:49]
	v_fma_f64 v[44:45], v[48:49], v[44:45], -v[50:51]
	v_fma_f64 v[36:37], v[48:49], v[36:37], v[44:45]
	v_add_f64 v[44:45], v[50:51], v[36:37]
	v_add_f64 v[52:53], v[38:39], -v[44:45]
	v_add_f64 v[50:51], v[44:45], -v[50:51]
	;; [unrolled: 1-line block ×4, first 2 shown]
	v_cvt_f64_i32_e32 v[50:51], v54
	v_add_f64 v[38:39], v[38:39], -v[44:45]
	v_add_f64 v[36:37], v[36:37], v[38:39]
	v_add_f64 v[36:37], v[52:53], v[36:37]
	v_mul_f64 v[52:53], v[50:51], s[44:45]
	v_mul_f64 v[36:37], v[46:47], v[36:37]
	v_fma_f64 v[54:55], v[50:51], s[44:45], -v[52:53]
	v_add_f64 v[38:39], v[48:49], v[36:37]
	v_fma_f64 v[50:51], v[50:51], s[46:47], v[54:55]
	v_add_f64 v[44:45], v[38:39], -v[48:49]
	v_add_f64 v[54:55], v[52:53], v[50:51]
	v_add_f64 v[36:37], v[36:37], -v[44:45]
	v_mul_f64 v[44:45], v[38:39], v[38:39]
	v_add_f64 v[52:53], v[54:55], -v[52:53]
	v_add_f64 v[48:49], v[36:37], v[36:37]
	v_fma_f64 v[46:47], v[38:39], v[38:39], -v[44:45]
	v_ldexp_f64 v[56:57], v[36:37], 1
	v_add_f64 v[50:51], v[50:51], -v[52:53]
	v_ldexp_f64 v[52:53], v[38:39], 1
	v_fma_f64 v[46:47], v[38:39], v[48:49], v[46:47]
	v_add_f64 v[48:49], v[44:45], v[46:47]
	v_add_f64 v[44:45], v[48:49], -v[44:45]
	v_mul_f64 v[58:59], v[38:39], v[48:49]
	v_add_f64 v[44:45], v[46:47], -v[44:45]
	v_fma_f64 v[46:47], v[48:49], s[16:17], v[24:25]
	v_fma_f64 v[60:61], v[48:49], v[38:39], -v[58:59]
	v_fma_f64 v[46:47], v[48:49], v[46:47], s[28:29]
	v_fma_f64 v[36:37], v[48:49], v[36:37], v[60:61]
	;; [unrolled: 1-line block ×5, first 2 shown]
	v_add_f64 v[38:39], v[58:59], v[36:37]
	v_fma_f64 v[46:47], v[48:49], v[46:47], s[36:37]
	v_add_f64 v[58:59], v[38:39], -v[58:59]
	v_fma_f64 v[46:47], v[48:49], v[46:47], s[38:39]
	v_add_f64 v[36:37], v[36:37], -v[58:59]
	v_fma_f64 v[46:47], v[48:49], v[46:47], s[40:41]
	v_fma_f64 v[46:47], v[48:49], v[46:47], s[42:43]
	v_mul_f64 v[58:59], v[48:49], v[46:47]
	v_fma_f64 v[48:49], v[48:49], v[46:47], -v[58:59]
	v_fma_f64 v[44:45], v[44:45], v[46:47], v[48:49]
	v_add_f64 v[46:47], v[58:59], v[44:45]
	v_add_f64 v[48:49], v[46:47], -v[58:59]
	v_add_f64 v[44:45], v[44:45], -v[48:49]
	v_add_f64 v[48:49], v[46:47], s[10:11]
	v_add_f64 v[44:45], v[44:45], s[48:49]
	;; [unrolled: 1-line block ×3, first 2 shown]
	v_add_f64 v[46:47], v[46:47], -v[58:59]
	v_add_f64 v[44:45], v[44:45], v[46:47]
	v_add_f64 v[46:47], v[48:49], v[44:45]
	v_add_f64 v[48:49], v[48:49], -v[46:47]
	v_add_f64 v[44:45], v[44:45], v[48:49]
	v_mul_f64 v[48:49], v[38:39], v[46:47]
	v_fma_f64 v[58:59], v[38:39], v[46:47], -v[48:49]
	v_fma_f64 v[38:39], v[38:39], v[44:45], v[58:59]
	v_fma_f64 v[36:37], v[36:37], v[46:47], v[38:39]
	v_add_f64 v[38:39], v[48:49], v[36:37]
	v_add_f64 v[44:45], v[38:39], -v[48:49]
	v_add_f64 v[36:37], v[36:37], -v[44:45]
	v_add_f64 v[44:45], v[52:53], v[38:39]
	v_add_f64 v[36:37], v[56:57], v[36:37]
	v_add_f64 v[46:47], v[44:45], -v[52:53]
	v_add_f64 v[38:39], v[38:39], -v[46:47]
	v_add_f64 v[36:37], v[36:37], v[38:39]
	;; [unrolled: 4-line block ×3, first 2 shown]
	v_add_f64 v[46:47], v[44:45], -v[54:55]
	v_add_f64 v[48:49], v[44:45], -v[46:47]
	;; [unrolled: 1-line block ×3, first 2 shown]
	v_add_f64 v[46:47], v[50:51], v[36:37]
	v_add_f64 v[48:49], v[54:55], -v[48:49]
	v_add_f64 v[38:39], v[38:39], v[48:49]
	v_add_f64 v[48:49], v[46:47], -v[50:51]
	;; [unrolled: 2-line block ×3, first 2 shown]
	v_add_f64 v[36:37], v[36:37], -v[48:49]
	v_add_f64 v[46:47], v[44:45], v[38:39]
	v_add_f64 v[50:51], v[50:51], -v[52:53]
	v_add_f64 v[44:45], v[46:47], -v[44:45]
	v_add_f64 v[36:37], v[36:37], v[50:51]
	v_add_f64 v[38:39], v[38:39], -v[44:45]
	v_add_f64 v[36:37], v[36:37], v[38:39]
	v_add_f64 v[38:39], v[46:47], v[36:37]
	v_add_f64 v[44:45], v[38:39], -v[46:47]
	v_add_f64 v[36:37], v[36:37], -v[44:45]
	v_mul_f64 v[44:45], v[10:11], v[38:39]
	v_fma_f64 v[38:39], v[10:11], v[38:39], -v[44:45]
	v_cmp_class_f64_e64 vcc, v[44:45], s88
	v_fma_f64 v[36:37], v[10:11], v[36:37], v[38:39]
	v_add_f64 v[38:39], v[44:45], v[36:37]
	v_add_f64 v[46:47], v[38:39], -v[44:45]
	v_cndmask_b32_e32 v39, v39, v45, vcc
	v_cndmask_b32_e32 v38, v38, v44, vcc
	v_mul_f64 v[44:45], v[38:39], s[52:53]
	v_cmp_neq_f64_e64 vcc, |v[38:39]|, s[50:51]
	v_cmp_ngt_f64_e64 s[0:1], s[80:81], v[38:39]
	v_add_f64 v[36:37], v[36:37], -v[46:47]
	v_rndne_f64_e32 v[44:45], v[44:45]
	v_cndmask_b32_e32 v37, 0, v37, vcc
	v_cndmask_b32_e32 v36, 0, v36, vcc
	v_cmp_nlt_f64_e32 vcc, s[78:79], v[38:39]
	v_fma_f64 v[46:47], v[44:45], s[54:55], v[38:39]
	v_fma_f64 v[46:47], v[44:45], s[56:57], v[46:47]
	v_cvt_i32_f64_e32 v44, v[44:45]
	v_fma_f64 v[48:49], v[46:47], s[60:61], v[22:23]
	v_fma_f64 v[48:49], v[46:47], v[48:49], s[62:63]
	v_fma_f64 v[48:49], v[46:47], v[48:49], s[64:65]
	v_fma_f64 v[48:49], v[46:47], v[48:49], s[66:67]
	v_fma_f64 v[48:49], v[46:47], v[48:49], s[68:69]
	v_fma_f64 v[48:49], v[46:47], v[48:49], s[70:71]
	v_fma_f64 v[48:49], v[46:47], v[48:49], s[72:73]
	v_fma_f64 v[48:49], v[46:47], v[48:49], s[74:75]
	v_fma_f64 v[48:49], v[46:47], v[48:49], s[76:77]
	v_fma_f64 v[48:49], v[46:47], v[48:49], 1.0
	v_fma_f64 v[46:47], v[46:47], v[48:49], 1.0
	v_ldexp_f64 v[44:45], v[46:47], v44
	v_cndmask_b32_e32 v45, v42, v45, vcc
	s_and_b64 vcc, s[0:1], vcc
	v_cndmask_b32_e32 v38, 0, v44, vcc
	v_cndmask_b32_e64 v39, 0, v45, s[0:1]
	v_fma_f64 v[36:37], v[38:39], v[36:37], v[38:39]
	v_cmp_class_f64_e64 vcc, v[38:39], s88
	v_cndmask_b32_e32 v44, v36, v38, vcc
	v_cndmask_b32_e32 v45, v37, v39, vcc
	v_trunc_f64_e32 v[36:37], v[10:11]
	v_cmp_eq_f64_e32 vcc, v[36:37], v[10:11]
	v_mul_f64 v[36:37], v[10:11], 0.5
	v_trunc_f64_e32 v[38:39], v[36:37]
	v_cmp_neq_f64_e64 s[0:1], v[38:39], v[36:37]
	v_cndmask_b32_e32 v37, 0, v44, vcc
	v_cndmask_b32_e64 v37, v44, v37, s[2:3]
	s_and_b64 s[0:1], vcc, s[0:1]
	v_cndmask_b32_e64 v11, v41, v35, s[0:1]
	v_bfi_b32 v11, s87, v45, v11
	v_cndmask_b32_e32 v36, v43, v11, vcc
	v_cndmask_b32_e64 v11, v11, v36, s[2:3]
	v_cmp_class_f64_e64 s[2:3], v[34:35], s88
	v_cmp_eq_f64_e32 vcc, 0, v[34:35]
	v_cndmask_b32_e64 v38, 0, v35, s[0:1]
	s_or_b64 s[2:3], vcc, s[2:3]
	v_cndmask_b32_e64 v36, v42, 0, vcc
	v_cmp_o_f64_e32 vcc, v[34:35], v[34:35]
	v_bfi_b32 v36, s87, v36, v38
	v_cndmask_b32_e64 v11, v11, v36, s[2:3]
	v_cndmask_b32_e64 v36, v37, 0, s[2:3]
	v_cmp_gt_f64_e64 s[2:3], 0, v[28:29]
	v_cndmask_b32_e32 v34, 0, v36, vcc
	v_cndmask_b32_e32 v35, v43, v11, vcc
	v_add_f64 v[32:33], v[32:33], v[34:35]
	v_fma_f64 v[34:35], -s[24:25], v[30:31], 1.0
	v_cmp_eq_f64_e32 vcc, 1.0, v[28:29]
	v_fma_f64 v[32:33], v[32:33], 2.0, v[12:13]
	v_mul_f64 v[34:35], v[16:17], v[34:35]
	v_cndmask_b32_e32 v11, 2.0, v41, vcc
	v_add_f64 v[32:33], v[14:15], v[32:33]
	v_mul_f64 v[32:33], v[34:35], v[32:33]
	v_fma_f64 v[30:31], v[16:17], v[30:31], v[32:33]
	v_fma_f64 v[16:17], -v[8:9], v[30:31], v[16:17]
	v_frexp_mant_f64_e64 v[31:32], |v[28:29]|
	v_frexp_exp_i32_f64_e32 v30, v[28:29]
	v_cmp_gt_f64_e32 vcc, s[10:11], v[31:32]
	v_cndmask_b32_e64 v33, 0, 1, vcc
	v_ldexp_f64 v[31:32], v[31:32], v33
	v_subbrev_co_u32_e32 v30, vcc, 0, v30, vcc
	v_add_f64 v[35:36], v[31:32], 1.0
	v_add_f64 v[33:34], v[31:32], -1.0
	v_add_f64 v[37:38], v[35:36], -1.0
	v_add_f64 v[31:32], v[31:32], -v[37:38]
	v_rcp_f64_e32 v[37:38], v[35:36]
	v_fma_f64 v[44:45], -v[35:36], v[37:38], 1.0
	v_fma_f64 v[37:38], v[44:45], v[37:38], v[37:38]
	v_fma_f64 v[44:45], -v[35:36], v[37:38], 1.0
	v_fma_f64 v[37:38], v[44:45], v[37:38], v[37:38]
	v_mul_f64 v[44:45], v[33:34], v[37:38]
	v_mul_f64 v[46:47], v[35:36], v[44:45]
	v_fma_f64 v[35:36], v[44:45], v[35:36], -v[46:47]
	v_fma_f64 v[31:32], v[44:45], v[31:32], v[35:36]
	v_add_f64 v[35:36], v[46:47], v[31:32]
	v_add_f64 v[48:49], v[33:34], -v[35:36]
	v_add_f64 v[46:47], v[35:36], -v[46:47]
	;; [unrolled: 1-line block ×4, first 2 shown]
	v_cvt_f64_i32_e32 v[46:47], v30
	v_add_f64 v[33:34], v[33:34], -v[35:36]
	v_add_f64 v[31:32], v[31:32], v[33:34]
	v_add_f64 v[31:32], v[48:49], v[31:32]
	v_mul_f64 v[48:49], v[46:47], s[44:45]
	v_mul_f64 v[31:32], v[37:38], v[31:32]
	v_fma_f64 v[50:51], v[46:47], s[44:45], -v[48:49]
	v_add_f64 v[33:34], v[44:45], v[31:32]
	v_fma_f64 v[46:47], v[46:47], s[46:47], v[50:51]
	v_add_f64 v[35:36], v[33:34], -v[44:45]
	v_add_f64 v[50:51], v[48:49], v[46:47]
	v_add_f64 v[31:32], v[31:32], -v[35:36]
	v_mul_f64 v[35:36], v[33:34], v[33:34]
	v_add_f64 v[48:49], v[50:51], -v[48:49]
	v_add_f64 v[44:45], v[31:32], v[31:32]
	v_fma_f64 v[37:38], v[33:34], v[33:34], -v[35:36]
	v_ldexp_f64 v[52:53], v[31:32], 1
	v_add_f64 v[46:47], v[46:47], -v[48:49]
	v_ldexp_f64 v[48:49], v[33:34], 1
	v_fma_f64 v[37:38], v[33:34], v[44:45], v[37:38]
	v_add_f64 v[44:45], v[35:36], v[37:38]
	v_add_f64 v[35:36], v[44:45], -v[35:36]
	v_mul_f64 v[54:55], v[33:34], v[44:45]
	v_add_f64 v[35:36], v[37:38], -v[35:36]
	v_fma_f64 v[37:38], v[44:45], s[16:17], v[24:25]
	v_fma_f64 v[56:57], v[44:45], v[33:34], -v[54:55]
	v_fma_f64 v[37:38], v[44:45], v[37:38], s[28:29]
	v_fma_f64 v[30:31], v[44:45], v[31:32], v[56:57]
	;; [unrolled: 1-line block ×5, first 2 shown]
	v_add_f64 v[32:33], v[54:55], v[30:31]
	v_fma_f64 v[37:38], v[44:45], v[37:38], s[36:37]
	v_add_f64 v[54:55], v[32:33], -v[54:55]
	v_fma_f64 v[37:38], v[44:45], v[37:38], s[38:39]
	v_add_f64 v[30:31], v[30:31], -v[54:55]
	v_fma_f64 v[37:38], v[44:45], v[37:38], s[40:41]
	v_fma_f64 v[37:38], v[44:45], v[37:38], s[42:43]
	v_mul_f64 v[54:55], v[44:45], v[37:38]
	v_fma_f64 v[44:45], v[44:45], v[37:38], -v[54:55]
	v_fma_f64 v[34:35], v[35:36], v[37:38], v[44:45]
	v_add_f64 v[36:37], v[54:55], v[34:35]
	v_add_f64 v[38:39], v[36:37], -v[54:55]
	v_add_f64 v[34:35], v[34:35], -v[38:39]
	v_add_f64 v[38:39], v[36:37], s[10:11]
	v_add_f64 v[34:35], v[34:35], s[48:49]
	v_add_f64 v[44:45], v[38:39], s[12:13]
	v_add_f64 v[36:37], v[36:37], -v[44:45]
	v_add_f64 v[34:35], v[34:35], v[36:37]
	v_add_f64 v[36:37], v[38:39], v[34:35]
	v_add_f64 v[38:39], v[38:39], -v[36:37]
	v_add_f64 v[34:35], v[34:35], v[38:39]
	v_mul_f64 v[38:39], v[32:33], v[36:37]
	v_fma_f64 v[44:45], v[32:33], v[36:37], -v[38:39]
	v_fma_f64 v[32:33], v[32:33], v[34:35], v[44:45]
	v_fma_f64 v[30:31], v[30:31], v[36:37], v[32:33]
	v_add_f64 v[32:33], v[38:39], v[30:31]
	v_add_f64 v[34:35], v[32:33], -v[38:39]
	v_add_f64 v[30:31], v[30:31], -v[34:35]
	v_add_f64 v[34:35], v[48:49], v[32:33]
	v_add_f64 v[30:31], v[52:53], v[30:31]
	v_add_f64 v[36:37], v[34:35], -v[48:49]
	v_add_f64 v[32:33], v[32:33], -v[36:37]
	v_add_f64 v[30:31], v[30:31], v[32:33]
	;; [unrolled: 4-line block ×3, first 2 shown]
	v_add_f64 v[36:37], v[34:35], -v[50:51]
	v_add_f64 v[38:39], v[34:35], -v[36:37]
	;; [unrolled: 1-line block ×3, first 2 shown]
	v_add_f64 v[36:37], v[46:47], v[30:31]
	v_add_f64 v[38:39], v[50:51], -v[38:39]
	v_add_f64 v[32:33], v[32:33], v[38:39]
	v_add_f64 v[38:39], v[36:37], -v[46:47]
	;; [unrolled: 2-line block ×3, first 2 shown]
	v_add_f64 v[30:31], v[30:31], -v[38:39]
	v_add_f64 v[36:37], v[34:35], v[32:33]
	v_add_f64 v[44:45], v[46:47], -v[44:45]
	v_add_f64 v[34:35], v[36:37], -v[34:35]
	v_add_f64 v[30:31], v[30:31], v[44:45]
	v_add_f64 v[32:33], v[32:33], -v[34:35]
	v_add_f64 v[30:31], v[30:31], v[32:33]
	v_add_f64 v[32:33], v[36:37], v[30:31]
	v_add_f64 v[34:35], v[32:33], -v[36:37]
	v_add_f64 v[30:31], v[30:31], -v[34:35]
	v_mul_f64 v[34:35], v[10:11], v[32:33]
	v_fma_f64 v[32:33], v[10:11], v[32:33], -v[34:35]
	v_cmp_class_f64_e64 vcc, v[34:35], s88
	v_fma_f64 v[30:31], v[10:11], v[30:31], v[32:33]
	v_add_f64 v[32:33], v[34:35], v[30:31]
	v_add_f64 v[36:37], v[32:33], -v[34:35]
	v_cndmask_b32_e32 v33, v33, v35, vcc
	v_cndmask_b32_e32 v32, v32, v34, vcc
	v_mul_f64 v[34:35], v[32:33], s[52:53]
	v_cmp_neq_f64_e64 vcc, |v[32:33]|, s[50:51]
	v_cmp_ngt_f64_e64 s[0:1], s[80:81], v[32:33]
	v_add_f64 v[30:31], v[30:31], -v[36:37]
	v_rndne_f64_e32 v[34:35], v[34:35]
	v_cndmask_b32_e32 v31, 0, v31, vcc
	v_cndmask_b32_e32 v30, 0, v30, vcc
	v_cmp_nlt_f64_e32 vcc, s[78:79], v[32:33]
	v_fma_f64 v[36:37], v[34:35], s[54:55], v[32:33]
	v_fma_f64 v[36:37], v[34:35], s[56:57], v[36:37]
	v_cvt_i32_f64_e32 v34, v[34:35]
	v_fma_f64 v[38:39], v[36:37], s[60:61], v[22:23]
	v_fma_f64 v[38:39], v[36:37], v[38:39], s[62:63]
	;; [unrolled: 1-line block ×9, first 2 shown]
	v_fma_f64 v[38:39], v[36:37], v[38:39], 1.0
	v_fma_f64 v[36:37], v[36:37], v[38:39], 1.0
	v_ldexp_f64 v[34:35], v[36:37], v34
	v_cndmask_b32_e32 v35, v42, v35, vcc
	s_and_b64 vcc, s[0:1], vcc
	v_cndmask_b32_e32 v32, 0, v34, vcc
	v_cndmask_b32_e64 v33, 0, v35, s[0:1]
	v_fma_f64 v[30:31], v[32:33], v[30:31], v[32:33]
	v_cmp_class_f64_e64 vcc, v[32:33], s88
	v_cndmask_b32_e32 v34, v30, v32, vcc
	v_cndmask_b32_e32 v35, v31, v33, vcc
	v_trunc_f64_e32 v[30:31], v[10:11]
	v_cmp_eq_f64_e32 vcc, v[30:31], v[10:11]
	v_mul_f64 v[30:31], v[10:11], 0.5
	v_trunc_f64_e32 v[32:33], v[30:31]
	v_cmp_neq_f64_e64 s[0:1], v[32:33], v[30:31]
	v_cndmask_b32_e32 v31, 0, v34, vcc
	v_cndmask_b32_e64 v31, v34, v31, s[2:3]
	s_and_b64 s[0:1], vcc, s[0:1]
	v_cndmask_b32_e64 v11, v41, v29, s[0:1]
	v_bfi_b32 v11, s87, v35, v11
	v_cndmask_b32_e32 v30, v43, v11, vcc
	v_cndmask_b32_e64 v11, v11, v30, s[2:3]
	v_cmp_class_f64_e64 s[2:3], v[28:29], s88
	v_cmp_eq_f64_e32 vcc, 0, v[28:29]
	v_cndmask_b32_e64 v32, 0, v29, s[0:1]
	s_or_b64 s[2:3], vcc, s[2:3]
	v_cndmask_b32_e64 v30, v42, 0, vcc
	v_cmp_o_f64_e32 vcc, v[28:29], v[28:29]
	v_bfi_b32 v30, s87, v30, v32
	v_cndmask_b32_e64 v11, v11, v30, s[2:3]
	v_cndmask_b32_e64 v30, v31, 0, s[2:3]
	v_frexp_mant_f64_e64 v[31:32], |v[26:27]|
	v_cmp_gt_f64_e64 s[2:3], 0, v[26:27]
	v_cndmask_b32_e32 v28, 0, v30, vcc
	v_cndmask_b32_e32 v29, v43, v11, vcc
	v_cmp_eq_f64_e32 vcc, 1.0, v[26:27]
	v_frexp_exp_i32_f64_e32 v30, v[26:27]
	v_cndmask_b32_e32 v11, 2.0, v41, vcc
	v_cmp_gt_f64_e32 vcc, s[10:11], v[31:32]
	v_cndmask_b32_e64 v33, 0, 1, vcc
	v_ldexp_f64 v[31:32], v[31:32], v33
	v_subbrev_co_u32_e32 v50, vcc, 0, v30, vcc
	v_add_f64 v[35:36], v[31:32], 1.0
	v_add_f64 v[33:34], v[31:32], -1.0
	v_add_f64 v[37:38], v[35:36], -1.0
	v_add_f64 v[30:31], v[31:32], -v[37:38]
	v_rcp_f64_e32 v[37:38], v[35:36]
	v_fma_f64 v[44:45], -v[35:36], v[37:38], 1.0
	v_fma_f64 v[37:38], v[44:45], v[37:38], v[37:38]
	v_fma_f64 v[44:45], -v[35:36], v[37:38], 1.0
	v_fma_f64 v[37:38], v[44:45], v[37:38], v[37:38]
	v_mul_f64 v[44:45], v[33:34], v[37:38]
	v_mul_f64 v[46:47], v[35:36], v[44:45]
	v_fma_f64 v[35:36], v[44:45], v[35:36], -v[46:47]
	v_fma_f64 v[30:31], v[44:45], v[30:31], v[35:36]
	v_add_f64 v[35:36], v[46:47], v[30:31]
	v_add_f64 v[48:49], v[33:34], -v[35:36]
	v_add_f64 v[46:47], v[35:36], -v[46:47]
	;; [unrolled: 1-line block ×5, first 2 shown]
	v_add_f64 v[30:31], v[30:31], v[32:33]
	v_add_f64 v[30:31], v[48:49], v[30:31]
	v_mul_f64 v[30:31], v[37:38], v[30:31]
	v_add_f64 v[36:37], v[44:45], v[30:31]
	v_add_f64 v[32:33], v[36:37], -v[44:45]
	v_add_f64 v[38:39], v[30:31], -v[32:33]
	v_mul_f64 v[30:31], v[36:37], v[36:37]
	v_add_f64 v[34:35], v[38:39], v[38:39]
	v_fma_f64 v[32:33], v[36:37], v[36:37], -v[30:31]
	v_fma_f64 v[32:33], v[36:37], v[34:35], v[32:33]
	v_ldexp_f64 v[34:35], v[36:37], 1
	v_add_f64 v[44:45], v[30:31], v[32:33]
	v_fma_f64 v[24:25], v[44:45], s[16:17], v[24:25]
	v_add_f64 v[30:31], v[44:45], -v[30:31]
	v_fma_f64 v[24:25], v[44:45], v[24:25], s[28:29]
	v_add_f64 v[46:47], v[32:33], -v[30:31]
	v_fma_f64 v[24:25], v[44:45], v[24:25], s[30:31]
	v_fma_f64 v[24:25], v[44:45], v[24:25], s[34:35]
	;; [unrolled: 1-line block ×6, first 2 shown]
	v_cvt_f64_i32_e32 v[24:25], v50
	v_mul_f64 v[50:51], v[36:37], v[44:45]
	v_mul_f64 v[32:33], v[24:25], s[44:45]
	v_fma_f64 v[52:53], v[44:45], v[36:37], -v[50:51]
	v_fma_f64 v[30:31], v[24:25], s[44:45], -v[32:33]
	v_fma_f64 v[24:25], v[24:25], s[46:47], v[30:31]
	v_add_f64 v[30:31], v[32:33], v[24:25]
	v_add_f64 v[32:33], v[30:31], -v[32:33]
	v_add_f64 v[24:25], v[24:25], -v[32:33]
	v_ldexp_f64 v[32:33], v[38:39], 1
	v_fma_f64 v[38:39], v[44:45], v[38:39], v[52:53]
	v_fma_f64 v[36:37], v[46:47], v[36:37], v[38:39]
	v_add_f64 v[38:39], v[50:51], v[36:37]
	v_add_f64 v[50:51], v[38:39], -v[50:51]
	v_add_f64 v[50:51], v[36:37], -v[50:51]
	v_mul_f64 v[36:37], v[44:45], v[48:49]
	v_fma_f64 v[44:45], v[44:45], v[48:49], -v[36:37]
	v_fma_f64 v[44:45], v[46:47], v[48:49], v[44:45]
	v_add_f64 v[46:47], v[36:37], v[44:45]
	v_add_f64 v[36:37], v[46:47], -v[36:37]
	v_add_f64 v[36:37], v[44:45], -v[36:37]
	v_add_f64 v[44:45], v[46:47], s[10:11]
	v_add_f64 v[36:37], v[36:37], s[48:49]
	;; [unrolled: 1-line block ×3, first 2 shown]
	v_add_f64 v[46:47], v[46:47], -v[48:49]
	v_add_f64 v[36:37], v[36:37], v[46:47]
	v_add_f64 v[46:47], v[44:45], v[36:37]
	v_add_f64 v[44:45], v[44:45], -v[46:47]
	v_add_f64 v[44:45], v[36:37], v[44:45]
	v_mul_f64 v[36:37], v[38:39], v[46:47]
	v_fma_f64 v[48:49], v[38:39], v[46:47], -v[36:37]
	v_fma_f64 v[38:39], v[38:39], v[44:45], v[48:49]
	v_fma_f64 v[38:39], v[50:51], v[46:47], v[38:39]
	v_add_f64 v[44:45], v[36:37], v[38:39]
	v_add_f64 v[36:37], v[44:45], -v[36:37]
	v_add_f64 v[36:37], v[38:39], -v[36:37]
	v_add_f64 v[38:39], v[34:35], v[44:45]
	v_add_f64 v[32:33], v[32:33], v[36:37]
	v_add_f64 v[34:35], v[38:39], -v[34:35]
	v_add_f64 v[34:35], v[44:45], -v[34:35]
	v_add_f64 v[32:33], v[32:33], v[34:35]
	;; [unrolled: 4-line block ×3, first 2 shown]
	v_add_f64 v[38:39], v[36:37], -v[30:31]
	v_add_f64 v[44:45], v[36:37], -v[38:39]
	;; [unrolled: 1-line block ×4, first 2 shown]
	v_add_f64 v[30:31], v[34:35], v[30:31]
	v_add_f64 v[34:35], v[24:25], v[32:33]
	v_add_f64 v[38:39], v[34:35], -v[24:25]
	v_add_f64 v[30:31], v[34:35], v[30:31]
	v_add_f64 v[44:45], v[34:35], -v[38:39]
	v_add_f64 v[32:33], v[32:33], -v[38:39]
	;; [unrolled: 1-line block ×3, first 2 shown]
	v_add_f64 v[24:25], v[32:33], v[24:25]
	v_add_f64 v[32:33], v[36:37], v[30:31]
	v_add_f64 v[34:35], v[32:33], -v[36:37]
	v_add_f64 v[30:31], v[30:31], -v[34:35]
	v_add_f64 v[30:31], v[24:25], v[30:31]
	v_add_f64 v[24:25], v[32:33], v[30:31]
	v_add_f64 v[32:33], v[24:25], -v[32:33]
	v_add_f64 v[30:31], v[30:31], -v[32:33]
	v_mul_f64 v[32:33], v[10:11], v[24:25]
	v_fma_f64 v[24:25], v[10:11], v[24:25], -v[32:33]
	v_cmp_class_f64_e64 vcc, v[32:33], s88
	v_fma_f64 v[24:25], v[10:11], v[30:31], v[24:25]
	v_add_f64 v[30:31], v[32:33], v[24:25]
	v_add_f64 v[34:35], v[30:31], -v[32:33]
	v_cndmask_b32_e32 v31, v31, v33, vcc
	v_cndmask_b32_e32 v30, v30, v32, vcc
	v_mul_f64 v[32:33], v[30:31], s[52:53]
	v_cmp_neq_f64_e64 vcc, |v[30:31]|, s[50:51]
	v_cmp_ngt_f64_e64 s[0:1], s[80:81], v[30:31]
	v_add_f64 v[24:25], v[24:25], -v[34:35]
	v_rndne_f64_e32 v[32:33], v[32:33]
	v_cndmask_b32_e32 v25, 0, v25, vcc
	v_cndmask_b32_e32 v24, 0, v24, vcc
	v_cmp_nlt_f64_e32 vcc, s[78:79], v[30:31]
	v_fma_f64 v[34:35], v[32:33], s[54:55], v[30:31]
	v_fma_f64 v[34:35], v[32:33], s[56:57], v[34:35]
	v_cvt_i32_f64_e32 v32, v[32:33]
	v_fma_f64 v[22:23], v[34:35], s[60:61], v[22:23]
	v_fma_f64 v[22:23], v[34:35], v[22:23], s[62:63]
	;; [unrolled: 1-line block ×9, first 2 shown]
	v_fma_f64 v[22:23], v[34:35], v[22:23], 1.0
	v_fma_f64 v[22:23], v[34:35], v[22:23], 1.0
	v_ldexp_f64 v[22:23], v[22:23], v32
	v_cndmask_b32_e32 v23, v42, v23, vcc
	s_and_b64 vcc, s[0:1], vcc
	v_cndmask_b32_e32 v22, 0, v22, vcc
	v_cndmask_b32_e64 v23, 0, v23, s[0:1]
	v_fma_f64 v[24:25], v[22:23], v[24:25], v[22:23]
	v_cmp_class_f64_e64 vcc, v[22:23], s88
	v_cndmask_b32_e32 v22, v24, v22, vcc
	v_cndmask_b32_e32 v23, v25, v23, vcc
	v_trunc_f64_e32 v[24:25], v[10:11]
	v_cmp_eq_f64_e32 vcc, v[24:25], v[10:11]
	v_mul_f64 v[24:25], v[10:11], 0.5
	v_trunc_f64_e32 v[30:31], v[24:25]
	v_cmp_neq_f64_e64 s[0:1], v[30:31], v[24:25]
	s_and_b64 s[0:1], vcc, s[0:1]
	v_cndmask_b32_e64 v11, v41, v27, s[0:1]
	v_bfi_b32 v23, s87, v23, v11
	v_cndmask_b32_e32 v24, v43, v23, vcc
	v_cndmask_b32_e32 v11, 0, v22, vcc
	v_cndmask_b32_e64 v11, v22, v11, s[2:3]
	v_cndmask_b32_e64 v22, v23, v24, s[2:3]
	v_cmp_eq_f64_e64 s[2:3], 0, v[26:27]
	v_cndmask_b32_e64 v24, 0, v27, s[0:1]
	v_cndmask_b32_e64 v23, v42, 0, s[2:3]
	s_or_b64 vcc, s[2:3], s[90:91]
	v_bfi_b32 v23, s87, v23, v24
	v_cndmask_b32_e32 v23, v22, v23, vcc
	v_cndmask_b32_e64 v11, v11, 0, vcc
	v_cmp_o_f64_e32 vcc, v[26:27], v[26:27]
	v_cndmask_b32_e32 v22, 0, v11, vcc
	v_cndmask_b32_e32 v23, v43, v23, vcc
	v_add_f64 v[22:23], v[28:29], v[22:23]
	v_cmp_ngt_f64_e32 vcc, 1.0, v[22:23]
	s_or_b64 s[82:83], vcc, s[82:83]
	s_andn2_b64 exec, exec, s[82:83]
	s_cbranch_execz .LBB0_6
.LBB0_10:                               ;   Parent Loop BB0_7 Depth=1
                                        ; =>  This Inner Loop Header: Depth=2
	v_mul_hi_i32 v11, v40, s18
	v_mov_b32_e32 v26, 0
	v_mov_b32_e32 v28, 0
	;; [unrolled: 1-line block ×3, first 2 shown]
	v_add_u32_e32 v11, v11, v40
	v_lshrrev_b32_e32 v22, 31, v11
	v_add_u32_sdwa v11, sext(v11), v22 dst_sel:DWORD dst_unused:UNUSED_PAD src0_sel:WORD_1 src1_sel:DWORD
	v_mad_i32_i24 v22, v11, s84, v40
	v_mul_lo_u32 v22, v22, s85
	v_mov_b32_e32 v29, 0
	v_mad_i32_i24 v11, v11, s86, v22
	v_add_u32_e32 v22, 0x7fffffff, v11
	v_cmp_gt_i32_e32 vcc, 0, v11
	v_cndmask_b32_e32 v11, v11, v22, vcc
	v_cvt_f64_i32_e32 v[22:23], v11
	v_mul_f64 v[22:23], v[22:23], s[6:7]
	v_cmp_gt_f64_e32 vcc, 0.5, v[22:23]
	s_and_saveexec_b64 s[0:1], vcc
	s_cbranch_execz .LBB0_14
; %bb.11:                               ;   in Loop: Header=BB0_10 Depth=2
	v_mul_hi_i32 v22, v11, s18
	v_mov_b32_e32 v29, s27
	v_mov_b32_e32 v28, s26
	v_add_u32_e32 v22, v22, v11
	v_lshrrev_b32_e32 v23, 31, v22
	v_add_u32_sdwa v22, sext(v22), v23 dst_sel:DWORD dst_unused:UNUSED_PAD src0_sel:WORD_1 src1_sel:DWORD
	v_mad_i32_i24 v11, v22, s84, v11
	v_mul_lo_u32 v11, v11, s85
	v_mad_i32_i24 v11, v22, s86, v11
	v_add_u32_e32 v22, 0x7fffffff, v11
	v_cmp_gt_i32_e32 vcc, 0, v11
	v_cndmask_b32_e32 v11, v11, v22, vcc
	v_cvt_f64_i32_e32 v[22:23], v11
	v_fma_f64 v[22:23], v[22:23], s[6:7], -0.5
	v_cmp_gt_f64_e32 vcc, 0, v[22:23]
	s_and_saveexec_b64 s[2:3], vcc
; %bb.12:                               ;   in Loop: Header=BB0_10 Depth=2
	v_mov_b32_e32 v29, s5
	v_mov_b32_e32 v28, s4
; %bb.13:                               ;   in Loop: Header=BB0_10 Depth=2
	s_or_b64 exec, exec, s[2:3]
.LBB0_14:                               ;   in Loop: Header=BB0_10 Depth=2
	s_or_b64 exec, exec, s[0:1]
	v_mul_hi_i32 v22, v11, s18
	v_add_u32_e32 v22, v22, v11
	v_lshrrev_b32_e32 v23, 31, v22
	v_add_u32_sdwa v22, sext(v22), v23 dst_sel:DWORD dst_unused:UNUSED_PAD src0_sel:WORD_1 src1_sel:DWORD
	v_mad_i32_i24 v11, v22, s84, v11
	v_mul_lo_u32 v11, v11, s85
	v_mad_i32_i24 v11, v22, s86, v11
	v_add_u32_e32 v22, 0x7fffffff, v11
	v_cmp_gt_i32_e32 vcc, 0, v11
	v_cndmask_b32_e32 v40, v11, v22, vcc
	v_cvt_f64_i32_e32 v[22:23], v40
	v_mul_f64 v[22:23], v[22:23], s[6:7]
	v_cmp_gt_f64_e32 vcc, 0.5, v[22:23]
	s_and_saveexec_b64 s[0:1], vcc
	s_cbranch_execz .LBB0_9
; %bb.15:                               ;   in Loop: Header=BB0_10 Depth=2
	v_mul_hi_i32 v11, v40, s18
	v_mov_b32_e32 v26, s26
	v_mov_b32_e32 v27, s27
	v_add_u32_e32 v11, v11, v40
	v_lshrrev_b32_e32 v22, 31, v11
	v_add_u32_sdwa v11, sext(v11), v22 dst_sel:DWORD dst_unused:UNUSED_PAD src0_sel:WORD_1 src1_sel:DWORD
	v_mad_i32_i24 v22, v11, s84, v40
	v_mul_lo_u32 v22, v22, s85
	v_mad_i32_i24 v11, v11, s86, v22
	v_add_u32_e32 v22, 0x7fffffff, v11
	v_cmp_gt_i32_e32 vcc, 0, v11
	v_cndmask_b32_e32 v40, v11, v22, vcc
	v_cvt_f64_i32_e32 v[22:23], v40
	v_fma_f64 v[22:23], v[22:23], s[6:7], -0.5
	v_cmp_gt_f64_e32 vcc, 0, v[22:23]
	s_and_saveexec_b64 s[2:3], vcc
	s_cbranch_execz .LBB0_8
; %bb.16:                               ;   in Loop: Header=BB0_10 Depth=2
	v_mov_b32_e32 v27, s5
	v_mov_b32_e32 v26, s4
	s_branch .LBB0_8
.LBB0_17:
	v_mov_b32_e32 v4, 0
	v_mov_b32_e32 v5, 0
.LBB0_18:
	v_add_f64 v[0:1], v[6:7], -1.0
	s_mov_b32 s2, 0x652b82fe
	s_mov_b32 s3, 0x3ff71547
	;; [unrolled: 1-line block ×7, first 2 shown]
	v_mul_f64 v[2:3], v[0:1], s[2:3]
	v_cvt_f64_i32_e32 v[10:11], s19
	s_mov_b32 s1, 0x3e928af3
	s_mov_b32 s12, 0x6a5dcb37
	;; [unrolled: 1-line block ×6, first 2 shown]
	v_rndne_f64_e32 v[6:7], v[2:3]
	s_mov_b32 s17, 0x3efa0199
	s_mov_b32 s18, 0x14761f6e
	;; [unrolled: 1-line block ×7, first 2 shown]
	v_fma_f64 v[2:3], v[6:7], s[4:5], v[0:1]
	s_mov_b32 s28, 0x555502a1
	s_mov_b32 s29, 0x3fa55555
	;; [unrolled: 1-line block ×7, first 2 shown]
	v_fma_f64 v[8:9], v[6:7], s[6:7], v[2:3]
	v_mov_b32_e32 v3, s1
	v_mov_b32_e32 v2, s0
	v_div_scale_f64 v[14:15], s[0:1], v[10:11], v[10:11], v[4:5]
	v_cvt_i32_f64_e32 v6, v[6:7]
	s_mov_b32 s24, 0
	s_mov_b32 s23, 0x40900000
	v_fma_f64 v[12:13], v[8:9], s[12:13], v[2:3]
	s_mov_b32 s25, 0xc090cc00
	v_cmp_ngt_f64_e64 s[0:1], s[24:25], v[0:1]
	s_mov_b32 s36, 0x4222de17
	s_mov_b32 s37, 0x3fbdee67
	s_movk_i32 s33, 0x204
	s_mov_b64 s[10:11], exec
	v_fma_f64 v[12:13], v[8:9], v[12:13], s[14:15]
	v_rcp_f64_e32 v[16:17], v[14:15]
	v_fma_f64 v[12:13], v[8:9], v[12:13], s[16:17]
	v_fma_f64 v[12:13], v[8:9], v[12:13], s[18:19]
	v_fma_f64 v[18:19], -v[14:15], v[16:17], 1.0
	v_fma_f64 v[12:13], v[8:9], v[12:13], s[20:21]
	v_fma_f64 v[16:17], v[16:17], v[18:19], v[16:17]
	v_div_scale_f64 v[18:19], vcc, v[4:5], v[10:11], v[4:5]
	v_fma_f64 v[12:13], v[8:9], v[12:13], s[26:27]
	v_fma_f64 v[20:21], -v[14:15], v[16:17], 1.0
	v_fma_f64 v[12:13], v[8:9], v[12:13], s[28:29]
	v_fma_f64 v[16:17], v[16:17], v[20:21], v[16:17]
	;; [unrolled: 1-line block ×3, first 2 shown]
	v_mul_f64 v[20:21], v[18:19], v[16:17]
	v_fma_f64 v[12:13], v[8:9], v[12:13], s[34:35]
	v_fma_f64 v[14:15], -v[14:15], v[20:21], v[18:19]
	v_fma_f64 v[12:13], v[8:9], v[12:13], 1.0
	v_fma_f64 v[8:9], v[8:9], v[12:13], 1.0
	v_div_fmas_f64 v[12:13], v[14:15], v[16:17], v[20:21]
	v_cmp_nlt_f64_e32 vcc, s[22:23], v[0:1]
	v_ldexp_f64 v[7:8], v[8:9], v6
	v_mov_b32_e32 v6, 0x7ff00000
	v_cndmask_b32_e32 v8, v6, v8, vcc
	v_div_fixup_f64 v[0:1], v[12:13], v[10:11], v[4:5]
	s_and_b64 vcc, s[0:1], vcc
	v_cndmask_b32_e64 v5, 0, v8, s[0:1]
	v_cndmask_b32_e32 v4, 0, v7, vcc
	s_mov_b32 s1, 0x3fe55555
	s_mov_b32 s0, 0x55555555
	v_add_f64 v[0:1], v[4:5], -v[0:1]
	v_frexp_mant_f64_e64 v[4:5], |v[0:1]|
	v_cmp_gt_f64_e32 vcc, s[0:1], v[4:5]
	v_cndmask_b32_e64 v7, 0, 1, vcc
	v_ldexp_f64 v[4:5], v[4:5], v7
	v_add_f64 v[7:8], v[4:5], 1.0
	v_add_f64 v[13:14], v[4:5], -1.0
	v_rcp_f64_e32 v[9:10], v[7:8]
	v_add_f64 v[15:16], v[7:8], -1.0
	v_add_f64 v[4:5], v[4:5], -v[15:16]
	v_fma_f64 v[11:12], -v[7:8], v[9:10], 1.0
	v_fma_f64 v[9:10], v[11:12], v[9:10], v[9:10]
	v_fma_f64 v[11:12], -v[7:8], v[9:10], 1.0
	v_fma_f64 v[9:10], v[11:12], v[9:10], v[9:10]
	v_mul_f64 v[11:12], v[13:14], v[9:10]
	v_mul_f64 v[17:18], v[7:8], v[11:12]
	v_fma_f64 v[7:8], v[11:12], v[7:8], -v[17:18]
	v_fma_f64 v[4:5], v[11:12], v[4:5], v[7:8]
	v_add_f64 v[7:8], v[17:18], v[4:5]
	v_add_f64 v[15:16], v[13:14], -v[7:8]
	v_add_f64 v[17:18], v[7:8], -v[17:18]
	v_add_f64 v[13:14], v[13:14], -v[15:16]
	v_add_f64 v[4:5], v[17:18], -v[4:5]
	v_add_f64 v[7:8], v[13:14], -v[7:8]
	v_add_f64 v[4:5], v[4:5], v[7:8]
	v_add_f64 v[4:5], v[15:16], v[4:5]
	v_mov_b32_e32 v15, 0x968915a9
	v_mov_b32_e32 v16, 0x3fba6564
	v_mul_f64 v[4:5], v[9:10], v[4:5]
	v_add_f64 v[7:8], v[11:12], v[4:5]
	v_add_f64 v[9:10], v[7:8], -v[11:12]
	v_mul_f64 v[11:12], v[7:8], v[7:8]
	v_add_f64 v[4:5], v[4:5], -v[9:10]
	v_fma_f64 v[9:10], v[7:8], v[7:8], -v[11:12]
	v_add_f64 v[13:14], v[4:5], v[4:5]
	v_fma_f64 v[9:10], v[7:8], v[13:14], v[9:10]
	v_add_f64 v[13:14], v[11:12], v[9:10]
	v_fma_f64 v[15:16], v[13:14], s[36:37], v[15:16]
	s_mov_b32 s36, 0x3abe935a
	s_mov_b32 s37, 0x3fbe25e4
	v_add_f64 v[11:12], v[13:14], -v[11:12]
	v_mul_f64 v[21:22], v[7:8], v[13:14]
	v_fma_f64 v[15:16], v[13:14], v[15:16], s[36:37]
	s_mov_b32 s36, 0x47e6c9c2
	s_mov_b32 s37, 0x3fc110ef
	v_add_f64 v[9:10], v[9:10], -v[11:12]
	v_fma_f64 v[15:16], v[13:14], v[15:16], s[36:37]
	s_mov_b32 s36, 0xcfa74449
	s_mov_b32 s37, 0x3fc3b13b
	v_fma_f64 v[15:16], v[13:14], v[15:16], s[36:37]
	s_mov_b32 s36, 0x71bf3c30
	s_mov_b32 s37, 0x3fc745d1
	v_fma_f64 v[15:16], v[13:14], v[15:16], s[36:37]
	s_mov_b32 s36, 0x1c7792ce
	s_mov_b32 s37, 0x3fcc71c7
	v_fma_f64 v[15:16], v[13:14], v[15:16], s[36:37]
	s_mov_b32 s36, 0x924920da
	s_mov_b32 s37, 0x3fd24924
	v_fma_f64 v[15:16], v[13:14], v[15:16], s[36:37]
	s_mov_b32 s36, 0x9999999c
	s_mov_b32 s37, 0x3fd99999
	v_fma_f64 v[15:16], v[13:14], v[15:16], s[36:37]
	v_mul_f64 v[17:18], v[13:14], v[15:16]
	v_fma_f64 v[11:12], v[13:14], v[15:16], -v[17:18]
	v_fma_f64 v[11:12], v[9:10], v[15:16], v[11:12]
	v_add_f64 v[15:16], v[17:18], v[11:12]
	v_add_f64 v[19:20], v[15:16], s[0:1]
	v_add_f64 v[17:18], v[15:16], -v[17:18]
	s_mov_b32 s1, 0xbfe55555
	v_add_f64 v[23:24], v[19:20], s[0:1]
	v_add_f64 v[11:12], v[11:12], -v[17:18]
	v_fma_f64 v[17:18], v[13:14], v[7:8], -v[21:22]
	s_mov_b32 s0, 0xd5df274d
	s_mov_b32 s1, 0x3c8543b0
	v_add_f64 v[15:16], v[15:16], -v[23:24]
	v_add_f64 v[11:12], v[11:12], s[0:1]
	v_fma_f64 v[13:14], v[13:14], v[4:5], v[17:18]
	s_mov_b32 s1, 0x3fe62e42
	s_mov_b32 s0, s4
	v_ldexp_f64 v[4:5], v[4:5], 1
	v_add_f64 v[11:12], v[11:12], v[15:16]
	v_fma_f64 v[9:10], v[9:10], v[7:8], v[13:14]
	v_ldexp_f64 v[7:8], v[7:8], 1
	v_add_f64 v[13:14], v[19:20], v[11:12]
	v_add_f64 v[15:16], v[21:22], v[9:10]
	v_add_f64 v[17:18], v[19:20], -v[13:14]
	v_mul_f64 v[19:20], v[15:16], v[13:14]
	v_add_f64 v[21:22], v[15:16], -v[21:22]
	v_add_f64 v[11:12], v[11:12], v[17:18]
	v_fma_f64 v[17:18], v[15:16], v[13:14], -v[19:20]
	v_add_f64 v[9:10], v[9:10], -v[21:22]
	v_fma_f64 v[11:12], v[15:16], v[11:12], v[17:18]
	v_fma_f64 v[9:10], v[9:10], v[13:14], v[11:12]
	v_frexp_exp_i32_f64_e32 v13, v[0:1]
	v_add_f64 v[11:12], v[19:20], v[9:10]
	v_subbrev_co_u32_e32 v17, vcc, 0, v13, vcc
	v_cvt_f64_i32_e32 v[17:18], v17
	v_cmp_eq_f64_e32 vcc, 1.0, v[0:1]
	v_add_f64 v[13:14], v[7:8], v[11:12]
	v_add_f64 v[15:16], v[11:12], -v[19:20]
	v_mul_f64 v[19:20], v[17:18], s[0:1]
	v_add_f64 v[7:8], v[13:14], -v[7:8]
	v_add_f64 v[9:10], v[9:10], -v[15:16]
	v_fma_f64 v[15:16], v[17:18], s[0:1], -v[19:20]
	s_mov_b32 s1, 0x3c7abc9e
	s_mov_b32 s0, s6
	v_add_f64 v[7:8], v[11:12], -v[7:8]
	v_add_f64 v[4:5], v[4:5], v[9:10]
	v_fma_f64 v[9:10], v[17:18], s[0:1], v[15:16]
	s_mov_b32 s0, 0
	s_mov_b32 s1, 0x7ff00000
	v_add_f64 v[4:5], v[4:5], v[7:8]
	v_add_f64 v[7:8], v[19:20], v[9:10]
	;; [unrolled: 1-line block ×3, first 2 shown]
	v_add_f64 v[19:20], v[7:8], -v[19:20]
	v_add_f64 v[15:16], v[7:8], v[11:12]
	v_add_f64 v[13:14], v[11:12], -v[13:14]
	v_add_f64 v[9:10], v[9:10], -v[19:20]
	v_mov_b32_e32 v19, 0x3ff00000
	v_add_f64 v[17:18], v[15:16], -v[7:8]
	v_add_f64 v[4:5], v[4:5], -v[13:14]
	;; [unrolled: 1-line block ×4, first 2 shown]
	v_add_f64 v[13:14], v[9:10], v[4:5]
	v_add_f64 v[7:8], v[7:8], -v[21:22]
	v_add_f64 v[7:8], v[11:12], v[7:8]
	v_add_f64 v[11:12], v[13:14], -v[9:10]
	;; [unrolled: 2-line block ×3, first 2 shown]
	v_add_f64 v[4:5], v[4:5], -v[11:12]
	v_add_f64 v[17:18], v[15:16], v[7:8]
	v_add_f64 v[9:10], v[9:10], -v[13:14]
	v_add_f64 v[11:12], v[17:18], -v[15:16]
	v_add_f64 v[4:5], v[4:5], v[9:10]
	v_mov_b32_e32 v9, 0
	v_cndmask_b32_e32 v10, 2.0, v19, vcc
	v_add_f64 v[7:8], v[7:8], -v[11:12]
	v_add_f64 v[4:5], v[4:5], v[7:8]
	v_add_f64 v[7:8], v[17:18], v[4:5]
	v_add_f64 v[11:12], v[7:8], -v[17:18]
	v_mul_f64 v[13:14], v[9:10], v[7:8]
	v_add_f64 v[4:5], v[4:5], -v[11:12]
	v_fma_f64 v[7:8], v[9:10], v[7:8], -v[13:14]
	v_cmp_class_f64_e64 vcc, v[13:14], s33
	v_fma_f64 v[4:5], v[9:10], v[4:5], v[7:8]
	v_add_f64 v[7:8], v[13:14], v[4:5]
	v_cndmask_b32_e32 v12, v8, v14, vcc
	v_cndmask_b32_e32 v11, v7, v13, vcc
	v_mul_f64 v[15:16], v[11:12], s[2:3]
	v_add_f64 v[7:8], v[7:8], -v[13:14]
	v_cmp_neq_f64_e64 vcc, |v[11:12]|, s[0:1]
	v_cmp_nlt_f64_e64 s[0:1], s[22:23], v[11:12]
	v_cmp_ngt_f64_e64 s[2:3], s[24:25], v[11:12]
	v_trunc_f64_e32 v[13:14], v[9:10]
	v_rndne_f64_e32 v[15:16], v[15:16]
	v_add_f64 v[4:5], v[4:5], -v[7:8]
	v_mov_b32_e32 v7, 0x7ff80000
	v_fma_f64 v[17:18], v[15:16], s[4:5], v[11:12]
	v_cndmask_b32_e32 v5, 0, v5, vcc
	v_cndmask_b32_e32 v4, 0, v4, vcc
	s_and_b64 vcc, s[2:3], s[0:1]
	v_cmp_eq_f64_e64 s[4:5], v[13:14], v[9:10]
	v_fma_f64 v[17:18], v[15:16], s[6:7], v[17:18]
	v_cvt_i32_f64_e32 v15, v[15:16]
	v_fma_f64 v[2:3], v[17:18], s[12:13], v[2:3]
	v_cmp_class_f64_e64 s[12:13], v[0:1], s33
	v_fma_f64 v[2:3], v[17:18], v[2:3], s[14:15]
	s_brev_b32 s14, -2
	v_fma_f64 v[2:3], v[17:18], v[2:3], s[16:17]
	v_fma_f64 v[2:3], v[17:18], v[2:3], s[18:19]
	;; [unrolled: 1-line block ×7, first 2 shown]
	v_fma_f64 v[2:3], v[17:18], v[2:3], 1.0
	v_fma_f64 v[2:3], v[17:18], v[2:3], 1.0
	v_mul_f64 v[17:18], v[9:10], 0.5
	v_ldexp_f64 v[2:3], v[2:3], v15
	v_trunc_f64_e32 v[15:16], v[17:18]
	v_cndmask_b32_e64 v3, v6, v3, s[0:1]
	v_cndmask_b32_e64 v3, 0, v3, s[2:3]
	v_cndmask_b32_e32 v2, 0, v2, vcc
	v_fma_f64 v[4:5], v[2:3], v[4:5], v[2:3]
	v_cmp_class_f64_e64 vcc, v[2:3], s33
	v_cmp_neq_f64_e64 s[6:7], v[15:16], v[17:18]
	v_cmp_eq_f64_e64 s[2:3], 0, v[0:1]
	v_cndmask_b32_e32 v2, v4, v2, vcc
	v_cndmask_b32_e32 v3, v5, v3, vcc
	v_cmp_gt_f64_e32 vcc, 0, v[0:1]
	s_and_b64 s[0:1], s[4:5], s[6:7]
	v_cndmask_b32_e64 v8, v19, v1, s[0:1]
	v_bfi_b32 v3, s14, v3, v8
	v_cndmask_b32_e64 v4, v7, v3, s[4:5]
	v_cndmask_b32_e64 v5, 0, v2, s[4:5]
	;; [unrolled: 1-line block ×4, first 2 shown]
	v_bfi_b32 v6, s14, v6, v8
	v_cndmask_b32_e32 v2, v2, v5, vcc
	v_cndmask_b32_e32 v3, v3, v4, vcc
	s_or_b64 vcc, s[2:3], s[12:13]
	v_cndmask_b32_e32 v3, v3, v6, vcc
	v_cndmask_b32_e64 v2, v2, 0, vcc
	v_cmp_o_f64_e32 vcc, v[0:1], v[0:1]
	v_mov_b32_e32 v4, 0
	v_bfrev_b32_e32 v5, 1
	v_cndmask_b32_e32 v0, 0, v2, vcc
	v_cndmask_b32_e32 v1, v7, v3, vcc
.LBB0_19:                               ; =>This Inner Loop Header: Depth=1
	s_ff1_i32_b64 s2, s[10:11]
	v_readlane_b32 s1, v1, s2
	v_readlane_b32 s0, v0, s2
	v_add_f64 v[4:5], v[4:5], s[0:1]
	s_lshl_b64 s[0:1], 1, s2
	s_andn2_b64 s[10:11], s[10:11], s[0:1]
	s_cmp_lg_u64 s[10:11], 0
	s_cbranch_scc1 .LBB0_19
; %bb.20:
	v_mbcnt_lo_u32_b32 v0, exec_lo, 0
	v_mbcnt_hi_u32_b32 v0, exec_hi, v0
	v_cmp_eq_u32_e32 vcc, 0, v0
	s_and_saveexec_b64 s[0:1], vcc
	s_xor_b64 s[0:1], exec, s[0:1]
	s_cbranch_execz .LBB0_23
; %bb.21:
	s_waitcnt lgkmcnt(0)
	s_load_dwordx2 s[2:3], s[8:9], 0x0
	s_mov_b64 s[0:1], 0
	v_mov_b32_e32 v6, 0
	s_waitcnt lgkmcnt(0)
	v_mov_b32_e32 v2, s2
	v_mov_b32_e32 v3, s3
.LBB0_22:                               ; =>This Inner Loop Header: Depth=1
	v_add_f64 v[0:1], v[2:3], v[4:5]
	global_atomic_cmpswap_x2 v[0:1], v6, v[0:3], s[8:9] glc
	s_waitcnt vmcnt(0)
	v_cmp_eq_u64_e32 vcc, v[0:1], v[2:3]
	v_mov_b32_e32 v3, v1
	s_or_b64 s[0:1], vcc, s[0:1]
	v_mov_b32_e32 v2, v0
	s_andn2_b64 exec, exec, s[0:1]
	s_cbranch_execnz .LBB0_22
.LBB0_23:
	s_endpgm
	.section	.rodata,"a",@progbits
	.p2align	6, 0x0
	.amdhsa_kernel _Z2fkiiiiddddPiPd
		.amdhsa_group_segment_fixed_size 0
		.amdhsa_private_segment_fixed_size 0
		.amdhsa_kernarg_size 320
		.amdhsa_user_sgpr_count 6
		.amdhsa_user_sgpr_private_segment_buffer 1
		.amdhsa_user_sgpr_dispatch_ptr 0
		.amdhsa_user_sgpr_queue_ptr 0
		.amdhsa_user_sgpr_kernarg_segment_ptr 1
		.amdhsa_user_sgpr_dispatch_id 0
		.amdhsa_user_sgpr_flat_scratch_init 0
		.amdhsa_user_sgpr_private_segment_size 0
		.amdhsa_uses_dynamic_stack 0
		.amdhsa_system_sgpr_private_segment_wavefront_offset 0
		.amdhsa_system_sgpr_workgroup_id_x 1
		.amdhsa_system_sgpr_workgroup_id_y 1
		.amdhsa_system_sgpr_workgroup_id_z 0
		.amdhsa_system_sgpr_workgroup_info 0
		.amdhsa_system_vgpr_workitem_id 1
		.amdhsa_next_free_vgpr 62
		.amdhsa_next_free_sgpr 92
		.amdhsa_reserve_vcc 1
		.amdhsa_reserve_flat_scratch 0
		.amdhsa_float_round_mode_32 0
		.amdhsa_float_round_mode_16_64 0
		.amdhsa_float_denorm_mode_32 3
		.amdhsa_float_denorm_mode_16_64 3
		.amdhsa_dx10_clamp 1
		.amdhsa_ieee_mode 1
		.amdhsa_fp16_overflow 0
		.amdhsa_exception_fp_ieee_invalid_op 0
		.amdhsa_exception_fp_denorm_src 0
		.amdhsa_exception_fp_ieee_div_zero 0
		.amdhsa_exception_fp_ieee_overflow 0
		.amdhsa_exception_fp_ieee_underflow 0
		.amdhsa_exception_fp_ieee_inexact 0
		.amdhsa_exception_int_div_zero 0
	.end_amdhsa_kernel
	.text
.Lfunc_end0:
	.size	_Z2fkiiiiddddPiPd, .Lfunc_end0-_Z2fkiiiiddddPiPd
                                        ; -- End function
	.set _Z2fkiiiiddddPiPd.num_vgpr, 62
	.set _Z2fkiiiiddddPiPd.num_agpr, 0
	.set _Z2fkiiiiddddPiPd.numbered_sgpr, 92
	.set _Z2fkiiiiddddPiPd.num_named_barrier, 0
	.set _Z2fkiiiiddddPiPd.private_seg_size, 0
	.set _Z2fkiiiiddddPiPd.uses_vcc, 1
	.set _Z2fkiiiiddddPiPd.uses_flat_scratch, 0
	.set _Z2fkiiiiddddPiPd.has_dyn_sized_stack, 0
	.set _Z2fkiiiiddddPiPd.has_recursion, 0
	.set _Z2fkiiiiddddPiPd.has_indirect_call, 0
	.section	.AMDGPU.csdata,"",@progbits
; Kernel info:
; codeLenInByte = 15980
; TotalNumSgprs: 96
; NumVgprs: 62
; ScratchSize: 0
; MemoryBound: 0
; FloatMode: 240
; IeeeMode: 1
; LDSByteSize: 0 bytes/workgroup (compile time only)
; SGPRBlocks: 11
; VGPRBlocks: 15
; NumSGPRsForWavesPerEU: 96
; NumVGPRsForWavesPerEU: 62
; Occupancy: 4
; WaveLimiterHint : 0
; COMPUTE_PGM_RSRC2:SCRATCH_EN: 0
; COMPUTE_PGM_RSRC2:USER_SGPR: 6
; COMPUTE_PGM_RSRC2:TRAP_HANDLER: 0
; COMPUTE_PGM_RSRC2:TGID_X_EN: 1
; COMPUTE_PGM_RSRC2:TGID_Y_EN: 1
; COMPUTE_PGM_RSRC2:TGID_Z_EN: 0
; COMPUTE_PGM_RSRC2:TIDIG_COMP_CNT: 1
	.section	.AMDGPU.gpr_maximums,"",@progbits
	.set amdgpu.max_num_vgpr, 0
	.set amdgpu.max_num_agpr, 0
	.set amdgpu.max_num_sgpr, 0
	.section	.AMDGPU.csdata,"",@progbits
	.type	__hip_cuid_f2d19f708ca0b3da,@object ; @__hip_cuid_f2d19f708ca0b3da
	.section	.bss,"aw",@nobits
	.globl	__hip_cuid_f2d19f708ca0b3da
__hip_cuid_f2d19f708ca0b3da:
	.byte	0                               ; 0x0
	.size	__hip_cuid_f2d19f708ca0b3da, 1

	.ident	"AMD clang version 22.0.0git (https://github.com/RadeonOpenCompute/llvm-project roc-7.2.4 26084 f58b06dce1f9c15707c5f808fd002e18c2accf7e)"
	.section	".note.GNU-stack","",@progbits
	.addrsig
	.addrsig_sym __hip_cuid_f2d19f708ca0b3da
	.amdgpu_metadata
---
amdhsa.kernels:
  - .args:
      - .offset:         0
        .size:           4
        .value_kind:     by_value
      - .offset:         4
        .size:           4
        .value_kind:     by_value
      - .offset:         8
        .size:           4
        .value_kind:     by_value
      - .offset:         12
        .size:           4
        .value_kind:     by_value
      - .offset:         16
        .size:           8
        .value_kind:     by_value
      - .offset:         24
        .size:           8
        .value_kind:     by_value
      - .offset:         32
        .size:           8
        .value_kind:     by_value
      - .offset:         40
        .size:           8
        .value_kind:     by_value
      - .address_space:  global
        .offset:         48
        .size:           8
        .value_kind:     global_buffer
      - .address_space:  global
        .offset:         56
        .size:           8
        .value_kind:     global_buffer
      - .offset:         64
        .size:           4
        .value_kind:     hidden_block_count_x
      - .offset:         68
        .size:           4
        .value_kind:     hidden_block_count_y
      - .offset:         72
        .size:           4
        .value_kind:     hidden_block_count_z
      - .offset:         76
        .size:           2
        .value_kind:     hidden_group_size_x
      - .offset:         78
        .size:           2
        .value_kind:     hidden_group_size_y
      - .offset:         80
        .size:           2
        .value_kind:     hidden_group_size_z
      - .offset:         82
        .size:           2
        .value_kind:     hidden_remainder_x
      - .offset:         84
        .size:           2
        .value_kind:     hidden_remainder_y
      - .offset:         86
        .size:           2
        .value_kind:     hidden_remainder_z
      - .offset:         104
        .size:           8
        .value_kind:     hidden_global_offset_x
      - .offset:         112
        .size:           8
        .value_kind:     hidden_global_offset_y
      - .offset:         120
        .size:           8
        .value_kind:     hidden_global_offset_z
      - .offset:         128
        .size:           2
        .value_kind:     hidden_grid_dims
    .group_segment_fixed_size: 0
    .kernarg_segment_align: 8
    .kernarg_segment_size: 320
    .language:       OpenCL C
    .language_version:
      - 2
      - 0
    .max_flat_workgroup_size: 1024
    .name:           _Z2fkiiiiddddPiPd
    .private_segment_fixed_size: 0
    .sgpr_count:     96
    .sgpr_spill_count: 0
    .symbol:         _Z2fkiiiiddddPiPd.kd
    .uniform_work_group_size: 1
    .uses_dynamic_stack: false
    .vgpr_count:     62
    .vgpr_spill_count: 0
    .wavefront_size: 64
amdhsa.target:   amdgcn-amd-amdhsa--gfx906
amdhsa.version:
  - 1
  - 2
...

	.end_amdgpu_metadata
